;; amdgpu-corpus repo=ROCm/rocFFT kind=compiled arch=gfx950 opt=O3
	.text
	.amdgcn_target "amdgcn-amd-amdhsa--gfx950"
	.amdhsa_code_object_version 6
	.protected	bluestein_single_fwd_len1078_dim1_dp_op_CI_CI ; -- Begin function bluestein_single_fwd_len1078_dim1_dp_op_CI_CI
	.globl	bluestein_single_fwd_len1078_dim1_dp_op_CI_CI
	.p2align	8
	.type	bluestein_single_fwd_len1078_dim1_dp_op_CI_CI,@function
bluestein_single_fwd_len1078_dim1_dp_op_CI_CI: ; @bluestein_single_fwd_len1078_dim1_dp_op_CI_CI
; %bb.0:
	s_load_dwordx4 s[16:19], s[0:1], 0x28
	v_mul_u32_u24_e32 v1, 0x354, v0
	v_lshrrev_b32_e32 v2, 16, v1
	v_mad_u64_u32 v[144:145], s[2:3], s2, 3, v[2:3]
	v_mov_b32_e32 v243, 0
	v_mov_b32_e32 v145, v243
	s_waitcnt lgkmcnt(0)
	v_cmp_gt_u64_e32 vcc, s[16:17], v[144:145]
	s_and_saveexec_b64 s[2:3], vcc
	s_cbranch_execz .LBB0_10
; %bb.1:
	s_load_dwordx4 s[12:15], s[0:1], 0x18
	s_load_dwordx4 s[8:11], s[0:1], 0x0
	v_mul_lo_u16_e32 v1, 0x4d, v2
	v_sub_u16_e32 v242, v0, v1
	v_mov_b32_e32 v4, s18
	s_waitcnt lgkmcnt(0)
	s_load_dwordx4 s[4:7], s[12:13], 0x0
	v_mov_b32_e32 v5, s19
	v_lshlrev_b32_e32 v28, 4, v242
	v_mov_b32_e32 v29, v243
	v_lshl_add_u64 v[30:31], s[8:9], 0, v[28:29]
	s_waitcnt lgkmcnt(0)
	v_mad_u64_u32 v[0:1], s[2:3], s6, v144, 0
	v_mov_b32_e32 v2, v1
	v_mad_u64_u32 v[2:3], s[2:3], s7, v144, v[2:3]
	v_mov_b32_e32 v1, v2
	;; [unrolled: 2-line block ×4, first 2 shown]
	v_lshl_add_u64 v[0:1], v[0:1], 4, v[4:5]
	v_lshl_add_u64 v[4:5], v[2:3], 4, v[0:1]
	v_mov_b32_e32 v29, 0x21b0
	v_mad_u64_u32 v[12:13], s[2:3], s4, v29, v[4:5]
	s_mul_i32 s2, s5, 0x21b0
	s_movk_i32 s3, 0x2000
	v_add_u32_e32 v13, s2, v13
	v_add_co_u32_e32 v24, vcc, s3, v30
	v_mov_b32_e32 v56, 0xffffe320
	s_mul_i32 s3, s5, 0xffffe320
	v_mad_u64_u32 v[14:15], s[6:7], s4, v56, v[12:13]
	s_sub_i32 s3, s3, s4
	global_load_dwordx4 v[0:3], v[4:5], off
	global_load_dwordx4 v[114:117], v28, s[8:9]
	v_add_u32_e32 v15, s3, v15
	v_addc_co_u32_e32 v25, vcc, 0, v31, vcc
	v_mad_u64_u32 v[20:21], s[6:7], s4, v29, v[14:15]
	global_load_dwordx4 v[8:11], v[12:13], off
	global_load_dwordx4 v[4:7], v[14:15], off
	global_load_dwordx4 v[66:69], v28, s[8:9] offset:1232
	global_load_dwordx4 v[74:77], v[24:25], off offset:432
	global_load_dwordx4 v[70:73], v[24:25], off offset:1664
	v_add_u32_e32 v21, s2, v21
	v_mad_u64_u32 v[22:23], s[6:7], s4, v56, v[20:21]
	v_add_u32_e32 v23, s3, v23
	v_mad_u64_u32 v[26:27], s[6:7], s4, v29, v[22:23]
	v_add_u32_e32 v27, s2, v27
	global_load_dwordx4 v[16:19], v[20:21], off
	global_load_dwordx4 v[12:15], v[22:23], off
	v_mad_u64_u32 v[32:33], s[6:7], s4, v56, v[26:27]
	v_add_u32_e32 v33, s3, v33
	global_load_dwordx4 v[20:23], v[26:27], off
	global_load_dwordx4 v[78:81], v[24:25], off offset:2896
	s_nop 0
	global_load_dwordx4 v[24:27], v[32:33], off
	global_load_dwordx4 v[86:89], v28, s[8:9] offset:2464
	global_load_dwordx4 v[82:85], v28, s[8:9] offset:3696
	s_movk_i32 s5, 0x3000
	v_mad_u64_u32 v[36:37], s[6:7], s4, v29, v[32:33]
	v_add_co_u32_e32 v40, vcc, s5, v30
	v_add_u32_e32 v37, s2, v37
	s_nop 0
	v_addc_co_u32_e32 v41, vcc, 0, v31, vcc
	s_movk_i32 s5, 0x1000
	global_load_dwordx4 v[32:35], v[36:37], off
	global_load_dwordx4 v[90:93], v[40:41], off offset:32
	v_mad_u64_u32 v[42:43], s[6:7], s4, v56, v[36:37]
	v_add_co_u32_e32 v30, vcc, s5, v30
	v_add_u32_e32 v43, s3, v43
	s_nop 0
	v_addc_co_u32_e32 v31, vcc, 0, v31, vcc
	global_load_dwordx4 v[36:39], v[42:43], off
	global_load_dwordx4 v[94:97], v[30:31], off offset:832
	v_mad_u64_u32 v[46:47], s[6:7], s4, v29, v[42:43]
	v_add_u32_e32 v47, s2, v47
	global_load_dwordx4 v[42:45], v[46:47], off
	global_load_dwordx4 v[98:101], v[40:41], off offset:1264
	v_mad_u64_u32 v[50:51], s[6:7], s4, v56, v[46:47]
	v_add_u32_e32 v51, s3, v51
	;; [unrolled: 4-line block ×5, first 2 shown]
	global_load_dwordx4 v[58:61], v[30:31], off
	global_load_dwordx4 v[118:121], v[40:41], off offset:3728
	s_load_dwordx2 s[2:3], s[0:1], 0x38
	s_load_dwordx4 s[4:7], s[14:15], 0x0
	s_mov_b32 s0, 0xaaaaaaab
	v_mul_hi_u32 v29, v144, s0
	v_lshrrev_b32_e32 v29, 1, v29
	v_lshl_add_u32 v29, v29, 1, v29
	v_sub_u32_e32 v29, v144, v29
	v_mul_u32_u24_e32 v29, 0x436, v29
	v_lshlrev_b32_e32 v122, 4, v29
	v_add_u32_e32 v145, v28, v122
	s_mov_b64 s[0:1], 0x4d
	v_lshl_add_u64 v[40:41], v[242:243], 0, s[0:1]
	v_accvgpr_write_b32 a29, v122
	v_cmp_gt_u16_e32 vcc, 21, v242
                                        ; implicit-def: $vgpr136_vgpr137
                                        ; implicit-def: $vgpr140_vgpr141
	s_waitcnt vmcnt(26)
	v_mul_f64 v[62:63], v[2:3], v[116:117]
	v_fmac_f64_e32 v[62:63], v[0:1], v[114:115]
	v_mul_f64 v[0:1], v[0:1], v[116:117]
	v_fma_f64 v[64:65], v[2:3], v[114:115], -v[0:1]
	ds_write_b128 v145, v[62:65]
	v_accvgpr_write_b32 a50, v114
	s_waitcnt vmcnt(23)
	v_accvgpr_write_b32 a0, v66
	s_waitcnt vmcnt(22)
	v_mul_f64 v[0:1], v[10:11], v[76:77]
	v_mul_f64 v[2:3], v[8:9], v[76:77]
	v_fmac_f64_e32 v[0:1], v[8:9], v[74:75]
	v_fma_f64 v[2:3], v[10:11], v[74:75], -v[2:3]
	ds_write_b128 v145, v[0:3] offset:8624
	v_mul_f64 v[0:1], v[6:7], v[68:69]
	v_mul_f64 v[2:3], v[4:5], v[68:69]
	v_fmac_f64_e32 v[0:1], v[4:5], v[66:67]
	v_fma_f64 v[2:3], v[6:7], v[66:67], -v[2:3]
	ds_write_b128 v145, v[0:3] offset:1232
	s_waitcnt vmcnt(20)
	v_mul_f64 v[0:1], v[18:19], v[72:73]
	v_mul_f64 v[2:3], v[16:17], v[72:73]
	v_fmac_f64_e32 v[0:1], v[16:17], v[70:71]
	v_fma_f64 v[2:3], v[18:19], v[70:71], -v[2:3]
	ds_write_b128 v145, v[0:3] offset:9856
	s_waitcnt vmcnt(15)
	v_mul_f64 v[0:1], v[14:15], v[88:89]
	v_mul_f64 v[2:3], v[12:13], v[88:89]
	v_fmac_f64_e32 v[0:1], v[12:13], v[86:87]
	v_fma_f64 v[2:3], v[14:15], v[86:87], -v[2:3]
	ds_write_b128 v145, v[0:3] offset:2464
	v_mul_f64 v[0:1], v[22:23], v[80:81]
	v_mul_f64 v[2:3], v[20:21], v[80:81]
	v_fmac_f64_e32 v[0:1], v[20:21], v[78:79]
	v_fma_f64 v[2:3], v[22:23], v[78:79], -v[2:3]
	ds_write_b128 v145, v[0:3] offset:11088
	s_waitcnt vmcnt(14)
	v_mul_f64 v[0:1], v[26:27], v[84:85]
	v_mul_f64 v[2:3], v[24:25], v[84:85]
	v_fmac_f64_e32 v[0:1], v[24:25], v[82:83]
	v_fma_f64 v[2:3], v[26:27], v[82:83], -v[2:3]
	ds_write_b128 v145, v[0:3] offset:3696
	s_waitcnt vmcnt(12)
	;; [unrolled: 6-line block ×8, first 2 shown]
	v_mul_f64 v[0:1], v[60:61], v[120:121]
	v_mul_f64 v[2:3], v[58:59], v[120:121]
	v_fmac_f64_e32 v[0:1], v[58:59], v[118:119]
	v_fma_f64 v[2:3], v[60:61], v[118:119], -v[2:3]
	ds_write_b128 v145, v[0:3] offset:16016
	s_waitcnt lgkmcnt(0)
	s_barrier
	ds_read_b128 v[0:3], v145 offset:8624
	ds_read_b128 v[4:7], v145
	ds_read_b128 v[8:11], v145 offset:1232
	ds_read_b128 v[12:15], v145 offset:9856
	;; [unrolled: 1-line block ×12, first 2 shown]
	v_accvgpr_write_b32 a1, v67
	v_accvgpr_write_b32 a2, v68
	;; [unrolled: 1-line block ×3, first 2 shown]
	s_waitcnt lgkmcnt(12)
	v_add_f64 v[58:59], v[4:5], -v[0:1]
	v_add_f64 v[60:61], v[6:7], -v[2:3]
	s_waitcnt lgkmcnt(4)
	v_add_f64 v[66:67], v[36:37], -v[32:33]
	v_lshlrev_b16_e32 v32, 1, v242
	v_accvgpr_write_b32 a8, v74
	v_accvgpr_write_b32 a4, v70
	v_fma_f64 v[4:5], v[4:5], 2.0, -v[58:59]
	v_fma_f64 v[6:7], v[6:7], 2.0, -v[60:61]
	v_add_f64 v[12:13], v[8:9], -v[12:13]
	v_add_f64 v[14:15], v[10:11], -v[14:15]
	;; [unrolled: 1-line block ×6, first 2 shown]
	v_lshl_add_u32 v32, v32, 4, v122
	v_accvgpr_write_b32 a9, v75
	v_accvgpr_write_b32 a10, v76
	;; [unrolled: 1-line block ×13, first 2 shown]
	v_fma_f64 v[8:9], v[8:9], 2.0, -v[12:13]
	v_fma_f64 v[10:11], v[10:11], 2.0, -v[14:15]
	;; [unrolled: 1-line block ×6, first 2 shown]
	v_add_f64 v[68:69], v[38:39], -v[34:35]
	s_waitcnt lgkmcnt(1)
	v_add_f64 v[0:1], v[42:43], -v[50:51]
	v_add_f64 v[2:3], v[44:45], -v[52:53]
	s_waitcnt lgkmcnt(0)
	v_add_f64 v[72:73], v[46:47], -v[54:55]
	v_add_f64 v[74:75], v[48:49], -v[56:57]
	s_barrier
	ds_write_b128 v32, v[4:7]
	v_accvgpr_write_b32 a59, v32
	ds_write_b128 v32, v[58:61] offset:16
	v_lshl_add_u32 v4, v40, 5, v122
	v_lshl_add_u32 v32, v242, 5, v122
	v_accvgpr_write_b32 a21, v87
	v_accvgpr_write_b32 a22, v88
	;; [unrolled: 1-line block ×21, first 2 shown]
	v_fma_f64 v[34:35], v[36:37], 2.0, -v[66:67]
	v_fma_f64 v[36:37], v[38:39], 2.0, -v[68:69]
	;; [unrolled: 1-line block ×6, first 2 shown]
	ds_write_b128 v4, v[8:11]
	ds_write_b128 v4, v[12:15] offset:16
	ds_write_b128 v32, v[20:23] offset:4928
	;; [unrolled: 1-line block ×11, first 2 shown]
	s_waitcnt lgkmcnt(0)
	s_barrier
	ds_read_b128 v[8:11], v145
	ds_read_b128 v[108:111], v145 offset:1568
	ds_read_b128 v[104:107], v145 offset:3136
	;; [unrolled: 1-line block ×10, first 2 shown]
	v_accvgpr_write_b32 a30, v94
	v_accvgpr_write_b32 a34, v98
	;; [unrolled: 1-line block ×16, first 2 shown]
                                        ; implicit-def: $vgpr20_vgpr21
                                        ; implicit-def: $vgpr76_vgpr77
                                        ; implicit-def: $vgpr84_vgpr85
                                        ; implicit-def: $vgpr112_vgpr113
                                        ; implicit-def: $vgpr4_vgpr5
                                        ; implicit-def: $vgpr12_vgpr13
	s_and_saveexec_b64 s[0:1], vcc
	s_cbranch_execz .LBB0_3
; %bb.2:
	ds_read_b128 v[0:3], v145 offset:1232
	ds_read_b128 v[16:19], v145 offset:2800
	;; [unrolled: 1-line block ×11, first 2 shown]
.LBB0_3:
	s_or_b64 exec, exec, s[0:1]
	v_add_u32_e32 v33, 0x1340, v32
	v_accvgpr_write_b32 a105, v33
	v_add_u32_e32 v33, 0x1ce0, v32
	v_accvgpr_write_b32 a104, v33
	;; [unrolled: 2-line block ×3, first 2 shown]
	v_add_u32_e32 v33, 0x3020, v32
	v_add_u32_e32 v32, 0x39c0, v32
	v_and_b32_e32 v41, 1, v242
	v_accvgpr_write_b32 a97, v32
	v_mul_u32_u24_e32 v32, 10, v41
	v_lshlrev_b32_e32 v34, 4, v32
	global_load_dwordx4 v[92:95], v34, s[10:11] offset:48
	global_load_dwordx4 v[96:99], v34, s[10:11] offset:32
	;; [unrolled: 1-line block ×3, first 2 shown]
	global_load_dwordx4 v[120:123], v34, s[10:11]
	v_accvgpr_write_b32 a102, v33
	s_mov_b32 s28, 0xf8bb580b
	s_mov_b32 s38, 0x8eee2c13
	;; [unrolled: 1-line block ×28, first 2 shown]
	v_accvgpr_write_b32 a28, v242
	s_waitcnt vmcnt(3) lgkmcnt(6)
	v_mul_f64 v[146:147], v[24:25], v[94:95]
	s_waitcnt vmcnt(2)
	v_mul_f64 v[158:159], v[28:29], v[98:99]
	s_waitcnt vmcnt(1)
	;; [unrolled: 2-line block ×3, first 2 shown]
	v_mul_f64 v[32:33], v[110:111], v[122:123]
	v_fma_f64 v[174:175], v[108:109], v[120:121], -v[32:33]
	v_mul_f64 v[172:173], v[108:109], v[122:123]
	v_mul_f64 v[32:33], v[106:107], v[102:103]
	v_fmac_f64_e32 v[172:173], v[110:111], v[120:121]
	v_fma_f64 v[168:169], v[104:105], v[100:101], -v[32:33]
	v_fmac_f64_e32 v[166:167], v[106:107], v[100:101]
	global_load_dwordx4 v[104:107], v34, s[10:11] offset:112
	global_load_dwordx4 v[108:111], v34, s[10:11] offset:96
	;; [unrolled: 1-line block ×6, first 2 shown]
	v_mul_f64 v[32:33], v[30:31], v[98:99]
	v_fma_f64 v[160:161], v[28:29], v[96:97], -v[32:33]
	v_mul_f64 v[28:29], v[26:27], v[94:95]
	v_fma_f64 v[148:149], v[24:25], v[92:93], -v[28:29]
	v_fmac_f64_e32 v[146:147], v[26:27], v[92:93]
	v_fmac_f64_e32 v[158:159], v[30:31], v[96:97]
	s_waitcnt vmcnt(4) lgkmcnt(3)
	v_mul_f64 v[162:163], v[68:69], v[110:111]
	v_fmac_f64_e32 v[162:163], v[70:71], v[108:109]
	s_waitcnt vmcnt(2)
	v_mul_f64 v[24:25], v[90:91], v[126:127]
	v_fma_f64 v[152:153], v[88:89], v[124:125], -v[24:25]
	v_mul_f64 v[24:25], v[82:83], v[118:119]
	v_fma_f64 v[156:157], v[80:81], v[116:117], -v[24:25]
	;; [unrolled: 2-line block ×3, first 2 shown]
	s_waitcnt lgkmcnt(2)
	v_mul_f64 v[24:25], v[66:67], v[106:107]
	v_fma_f64 v[170:171], v[64:65], v[104:105], -v[24:25]
	v_mul_f64 v[64:65], v[64:65], v[106:107]
	s_waitcnt vmcnt(0) lgkmcnt(1)
	v_mul_f64 v[24:25], v[62:63], v[134:135]
	v_fmac_f64_e32 v[64:65], v[66:67], v[104:105]
	v_fma_f64 v[66:67], v[60:61], v[132:133], -v[24:25]
	s_waitcnt lgkmcnt(0)
	v_mul_f64 v[24:25], v[58:59], v[130:131]
	v_fma_f64 v[176:177], v[56:57], v[128:129], -v[24:25]
	v_and_b32_e32 v24, 1, v40
	v_accvgpr_write_b32 a58, v24
	v_mul_u32_u24_e32 v24, 10, v24
	v_lshlrev_b32_e32 v24, 4, v24
	global_load_dwordx4 v[46:49], v24, s[10:11] offset:48
	global_load_dwordx4 v[42:45], v24, s[10:11] offset:32
	;; [unrolled: 1-line block ×3, first 2 shown]
	global_load_dwordx4 v[36:39], v24, s[10:11]
	v_mul_f64 v[150:151], v[88:89], v[126:127]
	v_fmac_f64_e32 v[150:151], v[90:91], v[124:125]
	v_mul_f64 v[60:61], v[60:61], v[134:135]
	v_fmac_f64_e32 v[60:61], v[62:63], v[132:133]
	;; [unrolled: 2-line block ×4, first 2 shown]
	v_accvgpr_read_b32 v88, a28
	v_accvgpr_read_b32 v83, a29
	v_mov_b32_e32 v25, 0
	s_waitcnt vmcnt(3)
	v_accvgpr_write_b32 a75, v49
	v_accvgpr_write_b32 a74, v48
	s_waitcnt vmcnt(1)
	v_mul_f64 v[30:31], v[72:73], v[34:35]
	s_waitcnt vmcnt(0)
	v_mul_f64 v[26:27], v[18:19], v[38:39]
	v_fma_f64 v[90:91], v[16:17], v[36:37], -v[26:27]
	v_mul_f64 v[28:29], v[16:17], v[38:39]
	v_mul_f64 v[16:17], v[74:75], v[34:35]
	v_accvgpr_write_b32 a63, v35
	v_accvgpr_write_b32 a67, v39
	v_fmac_f64_e32 v[28:29], v[18:19], v[36:37]
	v_fma_f64 v[16:17], v[72:73], v[32:33], -v[16:17]
	v_accvgpr_write_b32 a62, v34
	v_accvgpr_write_b32 a61, v33
	;; [unrolled: 1-line block ×3, first 2 shown]
	v_fmac_f64_e32 v[30:31], v[74:75], v[32:33]
	v_mul_f64 v[18:19], v[22:23], v[44:45]
	v_mul_f64 v[32:33], v[20:21], v[44:45]
	v_accvgpr_write_b32 a66, v38
	v_accvgpr_write_b32 a65, v37
	;; [unrolled: 1-line block ×3, first 2 shown]
	v_fma_f64 v[18:19], v[20:21], v[42:43], -v[18:19]
	v_fmac_f64_e32 v[32:33], v[22:23], v[42:43]
	v_mul_f64 v[20:21], v[78:79], v[48:49]
	v_mul_f64 v[22:23], v[76:77], v[48:49]
	v_accvgpr_write_b32 a73, v47
	v_accvgpr_write_b32 a72, v46
	global_load_dwordx4 v[52:55], v24, s[10:11] offset:112
	global_load_dwordx4 v[56:59], v24, s[10:11] offset:96
	;; [unrolled: 1-line block ×6, first 2 shown]
	v_accvgpr_write_b32 a71, v45
	v_accvgpr_write_b32 a70, v44
	;; [unrolled: 1-line block ×4, first 2 shown]
	v_fma_f64 v[20:21], v[76:77], v[46:47], -v[20:21]
	v_fmac_f64_e32 v[22:23], v[78:79], v[46:47]
	v_lshrrev_b32_e32 v24, 1, v88
	v_mul_u32_u24_e32 v24, 22, v24
	v_or_b32_e32 v24, v24, v41
	s_barrier
	s_waitcnt vmcnt(5)
	v_accvgpr_write_b32 a79, v55
	s_waitcnt vmcnt(4)
	v_accvgpr_write_b32 a83, v59
	s_waitcnt vmcnt(3)
	v_mul_f64 v[46:47], v[112:113], v[50:51]
	s_waitcnt vmcnt(2)
	v_mul_f64 v[26:27], v[86:87], v[38:39]
	v_fma_f64 v[34:35], v[84:85], v[36:37], -v[26:27]
	v_mul_f64 v[44:45], v[84:85], v[38:39]
	v_accvgpr_write_b32 a95, v39
	v_mul_f64 v[26:27], v[114:115], v[50:51]
	v_accvgpr_write_b32 a87, v51
	v_accvgpr_write_b32 a94, v38
	;; [unrolled: 1-line block ×4, first 2 shown]
	v_fmac_f64_e32 v[44:45], v[86:87], v[36:37]
	v_fma_f64 v[36:37], v[112:113], v[48:49], -v[26:27]
	v_accvgpr_write_b32 a86, v50
	v_accvgpr_write_b32 a85, v49
	;; [unrolled: 1-line block ×3, first 2 shown]
	v_fmac_f64_e32 v[46:47], v[114:115], v[48:49]
	v_mul_f64 v[26:27], v[138:139], v[58:59]
	v_mul_f64 v[48:49], v[136:137], v[58:59]
	v_fma_f64 v[38:39], v[136:137], v[56:57], -v[26:27]
	v_accvgpr_write_b32 a82, v58
	v_accvgpr_write_b32 a81, v57
	;; [unrolled: 1-line block ×3, first 2 shown]
	v_fmac_f64_e32 v[48:49], v[138:139], v[56:57]
	v_mul_f64 v[26:27], v[142:143], v[54:55]
	s_waitcnt vmcnt(0)
	v_mul_f64 v[56:57], v[4:5], v[74:75]
	v_fma_f64 v[42:43], v[140:141], v[52:53], -v[26:27]
	v_mul_f64 v[50:51], v[140:141], v[54:55]
	v_mul_f64 v[26:27], v[6:7], v[74:75]
	v_fmac_f64_e32 v[56:57], v[6:7], v[72:73]
	v_add_f64 v[6:7], v[10:11], v[172:173]
	v_accvgpr_write_b32 a78, v54
	v_accvgpr_write_b32 a77, v53
	;; [unrolled: 1-line block ×3, first 2 shown]
	v_fmac_f64_e32 v[50:51], v[142:143], v[52:53]
	v_fma_f64 v[52:53], v[4:5], v[72:73], -v[26:27]
	v_mul_f64 v[4:5], v[14:15], v[70:71]
	v_add_f64 v[6:7], v[6:7], v[166:167]
	v_fma_f64 v[54:55], v[12:13], v[68:69], -v[4:5]
	v_add_f64 v[4:5], v[8:9], v[174:175]
	v_add_f64 v[6:7], v[6:7], v[158:159]
	;; [unrolled: 1-line block ×14, first 2 shown]
	v_accvgpr_write_b32 a101, v75
	v_mul_f64 v[12:13], v[12:13], v[70:71]
	v_accvgpr_write_b32 a91, v71
	v_add_f64 v[4:5], v[4:5], v[170:171]
	v_add_f64 v[6:7], v[6:7], v[62:63]
	;; [unrolled: 1-line block ×3, first 2 shown]
	v_add_f64 v[58:59], v[174:175], -v[176:177]
	v_add_f64 v[62:63], v[172:173], -v[62:63]
	v_accvgpr_write_b32 a100, v74
	v_accvgpr_write_b32 a99, v73
	;; [unrolled: 1-line block ×6, first 2 shown]
	v_fmac_f64_e32 v[12:13], v[14:15], v[68:69]
	v_add_f64 v[4:5], v[4:5], v[66:67]
	v_add_f64 v[14:15], v[174:175], v[176:177]
	v_mul_f64 v[68:69], v[62:63], s[28:29]
	v_mul_f64 v[72:73], v[58:59], s[28:29]
	;; [unrolled: 1-line block ×10, first 2 shown]
	v_add_f64 v[4:5], v[4:5], v[176:177]
	v_fma_f64 v[70:71], v[14:15], s[0:1], -v[68:69]
	v_fma_f64 v[74:75], s[0:1], v[26:27], v[72:73]
	v_fmac_f64_e32 v[68:69], s[0:1], v[14:15]
	v_fma_f64 v[72:73], v[26:27], s[0:1], -v[72:73]
	v_fma_f64 v[78:79], v[14:15], s[12:13], -v[76:77]
	v_fma_f64 v[86:87], s[12:13], v[26:27], v[80:81]
	v_fmac_f64_e32 v[76:77], s[12:13], v[14:15]
	v_fma_f64 v[80:81], v[26:27], s[12:13], -v[80:81]
	v_fma_f64 v[114:115], v[14:15], s[14:15], -v[112:113]
	v_fma_f64 v[138:139], s[14:15], v[26:27], v[136:137]
	v_fmac_f64_e32 v[112:113], s[14:15], v[14:15]
	v_fma_f64 v[136:137], v[26:27], s[14:15], -v[136:137]
	v_fma_f64 v[142:143], v[14:15], s[16:17], -v[140:141]
	v_fma_f64 v[174:175], s[16:17], v[26:27], v[172:173]
	v_fmac_f64_e32 v[140:141], s[16:17], v[14:15]
	v_fma_f64 v[172:173], v[26:27], s[16:17], -v[172:173]
	v_fma_f64 v[176:177], v[14:15], s[18:19], -v[62:63]
	v_fma_f64 v[178:179], s[18:19], v[26:27], v[58:59]
	v_fmac_f64_e32 v[62:63], s[18:19], v[14:15]
	v_fma_f64 v[14:15], v[26:27], s[18:19], -v[58:59]
	v_add_f64 v[26:27], v[166:167], v[60:61]
	v_add_f64 v[60:61], v[166:167], -v[60:61]
	v_add_f64 v[70:71], v[8:9], v[70:71]
	v_add_f64 v[74:75], v[10:11], v[74:75]
	v_add_f64 v[68:69], v[8:9], v[68:69]
	v_add_f64 v[72:73], v[10:11], v[72:73]
	v_add_f64 v[78:79], v[8:9], v[78:79]
	v_add_f64 v[86:87], v[10:11], v[86:87]
	v_add_f64 v[76:77], v[8:9], v[76:77]
	v_add_f64 v[80:81], v[10:11], v[80:81]
	v_add_f64 v[114:115], v[8:9], v[114:115]
	v_add_f64 v[138:139], v[10:11], v[138:139]
	v_add_f64 v[112:113], v[8:9], v[112:113]
	v_add_f64 v[136:137], v[10:11], v[136:137]
	v_add_f64 v[142:143], v[8:9], v[142:143]
	v_add_f64 v[174:175], v[10:11], v[174:175]
	v_add_f64 v[140:141], v[8:9], v[140:141]
	v_add_f64 v[172:173], v[10:11], v[172:173]
	v_add_f64 v[176:177], v[8:9], v[176:177]
	v_add_f64 v[178:179], v[10:11], v[178:179]
	v_add_f64 v[8:9], v[8:9], v[62:63]
	v_add_f64 v[10:11], v[10:11], v[14:15]
	v_add_f64 v[14:15], v[168:169], v[66:67]
	v_mul_f64 v[62:63], v[60:61], s[38:39]
	v_add_f64 v[58:59], v[168:169], -v[66:67]
	v_fma_f64 v[66:67], v[14:15], s[12:13], -v[62:63]
	v_add_f64 v[66:67], v[66:67], v[70:71]
	v_mul_f64 v[70:71], v[58:59], s[38:39]
	v_fmac_f64_e32 v[62:63], s[12:13], v[14:15]
	v_fma_f64 v[166:167], s[12:13], v[26:27], v[70:71]
	v_add_f64 v[62:63], v[62:63], v[68:69]
	v_fma_f64 v[68:69], v[26:27], s[12:13], -v[70:71]
	v_mul_f64 v[70:71], v[60:61], s[22:23]
	v_add_f64 v[68:69], v[68:69], v[72:73]
	v_fma_f64 v[72:73], v[14:15], s[16:17], -v[70:71]
	v_add_f64 v[72:73], v[72:73], v[78:79]
	v_mul_f64 v[78:79], v[58:59], s[22:23]
	v_fmac_f64_e32 v[70:71], s[16:17], v[14:15]
	v_add_f64 v[74:75], v[166:167], v[74:75]
	v_fma_f64 v[166:167], s[16:17], v[26:27], v[78:79]
	v_add_f64 v[70:71], v[70:71], v[76:77]
	v_fma_f64 v[76:77], v[26:27], s[16:17], -v[78:79]
	v_mul_f64 v[78:79], v[60:61], s[36:37]
	v_add_f64 v[76:77], v[76:77], v[80:81]
	v_fma_f64 v[80:81], v[14:15], s[18:19], -v[78:79]
	v_add_f64 v[80:81], v[80:81], v[114:115]
	v_mul_f64 v[114:115], v[58:59], s[36:37]
	v_fmac_f64_e32 v[78:79], s[18:19], v[14:15]
	v_add_f64 v[86:87], v[166:167], v[86:87]
	v_fma_f64 v[166:167], s[18:19], v[26:27], v[114:115]
	v_add_f64 v[78:79], v[78:79], v[112:113]
	v_fma_f64 v[112:113], v[26:27], s[18:19], -v[114:115]
	v_mul_f64 v[114:115], v[60:61], s[34:35]
	v_add_f64 v[112:113], v[112:113], v[136:137]
	v_fma_f64 v[136:137], v[14:15], s[14:15], -v[114:115]
	v_add_f64 v[136:137], v[136:137], v[142:143]
	v_mul_f64 v[142:143], v[58:59], s[34:35]
	v_fmac_f64_e32 v[114:115], s[14:15], v[14:15]
	v_mul_f64 v[60:61], v[60:61], s[30:31]
	v_add_f64 v[138:139], v[166:167], v[138:139]
	v_fma_f64 v[166:167], s[14:15], v[26:27], v[142:143]
	v_add_f64 v[114:115], v[114:115], v[140:141]
	v_fma_f64 v[140:141], v[26:27], s[14:15], -v[142:143]
	v_fma_f64 v[142:143], v[14:15], s[0:1], -v[60:61]
	v_mul_f64 v[58:59], v[58:59], s[30:31]
	v_fmac_f64_e32 v[60:61], s[0:1], v[14:15]
	v_add_f64 v[8:9], v[60:61], v[8:9]
	v_fma_f64 v[14:15], v[26:27], s[0:1], -v[58:59]
	v_add_f64 v[60:61], v[158:159], -v[64:65]
	v_fma_f64 v[168:169], s[0:1], v[26:27], v[58:59]
	v_add_f64 v[10:11], v[14:15], v[10:11]
	v_add_f64 v[14:15], v[160:161], v[170:171]
	;; [unrolled: 1-line block ×3, first 2 shown]
	v_mul_f64 v[64:65], v[60:61], s[20:21]
	v_add_f64 v[58:59], v[160:161], -v[170:171]
	v_fma_f64 v[158:159], v[14:15], s[14:15], -v[64:65]
	v_add_f64 v[66:67], v[158:159], v[66:67]
	v_mul_f64 v[158:159], v[58:59], s[20:21]
	v_fmac_f64_e32 v[64:65], s[14:15], v[14:15]
	v_add_f64 v[62:63], v[64:65], v[62:63]
	v_fma_f64 v[64:65], v[26:27], s[14:15], -v[158:159]
	v_add_f64 v[64:65], v[64:65], v[68:69]
	v_mul_f64 v[68:69], v[60:61], s[36:37]
	v_fma_f64 v[160:161], s[14:15], v[26:27], v[158:159]
	v_fma_f64 v[158:159], v[14:15], s[18:19], -v[68:69]
	v_add_f64 v[72:73], v[158:159], v[72:73]
	v_mul_f64 v[158:159], v[58:59], s[36:37]
	v_fmac_f64_e32 v[68:69], s[18:19], v[14:15]
	v_add_f64 v[68:69], v[68:69], v[70:71]
	v_fma_f64 v[70:71], v[26:27], s[18:19], -v[158:159]
	v_add_f64 v[70:71], v[70:71], v[76:77]
	v_mul_f64 v[76:77], v[60:61], s[24:25]
	v_add_f64 v[74:75], v[160:161], v[74:75]
	v_fma_f64 v[160:161], s[18:19], v[26:27], v[158:159]
	v_fma_f64 v[158:159], v[14:15], s[12:13], -v[76:77]
	v_add_f64 v[80:81], v[158:159], v[80:81]
	v_mul_f64 v[158:159], v[58:59], s[24:25]
	v_fmac_f64_e32 v[76:77], s[12:13], v[14:15]
	v_add_f64 v[76:77], v[76:77], v[78:79]
	v_fma_f64 v[78:79], v[26:27], s[12:13], -v[158:159]
	v_add_f64 v[78:79], v[78:79], v[112:113]
	v_mul_f64 v[112:113], v[60:61], s[28:29]
	v_add_f64 v[86:87], v[160:161], v[86:87]
	v_fma_f64 v[160:161], s[12:13], v[26:27], v[158:159]
	v_fma_f64 v[158:159], v[14:15], s[0:1], -v[112:113]
	v_add_f64 v[136:137], v[158:159], v[136:137]
	v_mul_f64 v[158:159], v[58:59], s[28:29]
	v_fmac_f64_e32 v[112:113], s[0:1], v[14:15]
	v_add_f64 v[140:141], v[140:141], v[172:173]
	v_add_f64 v[112:113], v[112:113], v[114:115]
	v_fma_f64 v[114:115], v[26:27], s[0:1], -v[158:159]
	v_mul_f64 v[60:61], v[60:61], s[22:23]
	v_add_f64 v[142:143], v[142:143], v[176:177]
	v_add_f64 v[114:115], v[114:115], v[140:141]
	v_fma_f64 v[140:141], v[14:15], s[16:17], -v[60:61]
	v_mul_f64 v[58:59], v[58:59], s[22:23]
	v_add_f64 v[140:141], v[140:141], v[142:143]
	v_fma_f64 v[142:143], s[16:17], v[26:27], v[58:59]
	v_fmac_f64_e32 v[60:61], s[16:17], v[14:15]
	v_fma_f64 v[14:15], v[26:27], s[16:17], -v[58:59]
	v_add_f64 v[58:59], v[146:147], -v[162:163]
	v_add_f64 v[8:9], v[60:61], v[8:9]
	v_add_f64 v[10:11], v[14:15], v[10:11]
	;; [unrolled: 1-line block ×3, first 2 shown]
	v_mul_f64 v[60:61], v[58:59], s[22:23]
	v_add_f64 v[138:139], v[160:161], v[138:139]
	v_fma_f64 v[160:161], s[0:1], v[26:27], v[158:159]
	v_add_f64 v[158:159], v[146:147], v[162:163]
	v_add_f64 v[26:27], v[148:149], -v[164:165]
	v_fma_f64 v[146:147], v[14:15], s[16:17], -v[60:61]
	v_add_f64 v[66:67], v[146:147], v[66:67]
	v_mul_f64 v[146:147], v[26:27], s[22:23]
	v_fmac_f64_e32 v[60:61], s[16:17], v[14:15]
	v_add_f64 v[62:63], v[60:61], v[62:63]
	v_fma_f64 v[60:61], v[158:159], s[16:17], -v[146:147]
	v_add_f64 v[64:65], v[60:61], v[64:65]
	v_mul_f64 v[60:61], v[58:59], s[34:35]
	v_fma_f64 v[148:149], s[16:17], v[158:159], v[146:147]
	v_fma_f64 v[146:147], v[14:15], s[14:15], -v[60:61]
	v_add_f64 v[72:73], v[146:147], v[72:73]
	v_mul_f64 v[146:147], v[26:27], s[34:35]
	v_fmac_f64_e32 v[60:61], s[14:15], v[14:15]
	v_add_f64 v[68:69], v[60:61], v[68:69]
	v_fma_f64 v[60:61], v[158:159], s[14:15], -v[146:147]
	v_add_f64 v[70:71], v[60:61], v[70:71]
	v_mul_f64 v[60:61], v[58:59], s[28:29]
	v_add_f64 v[74:75], v[148:149], v[74:75]
	v_fma_f64 v[148:149], s[14:15], v[158:159], v[146:147]
	v_fma_f64 v[146:147], v[14:15], s[0:1], -v[60:61]
	v_add_f64 v[80:81], v[146:147], v[80:81]
	v_mul_f64 v[146:147], v[26:27], s[28:29]
	v_fmac_f64_e32 v[60:61], s[0:1], v[14:15]
	v_add_f64 v[76:77], v[60:61], v[76:77]
	v_fma_f64 v[60:61], v[158:159], s[0:1], -v[146:147]
	v_add_f64 v[78:79], v[60:61], v[78:79]
	v_mul_f64 v[60:61], v[58:59], s[26:27]
	v_add_f64 v[86:87], v[148:149], v[86:87]
	v_fma_f64 v[148:149], s[0:1], v[158:159], v[146:147]
	v_fma_f64 v[146:147], v[14:15], s[18:19], -v[60:61]
	v_add_f64 v[136:137], v[146:147], v[136:137]
	v_mul_f64 v[146:147], v[26:27], s[26:27]
	v_fmac_f64_e32 v[60:61], s[18:19], v[14:15]
	v_add_f64 v[138:139], v[148:149], v[138:139]
	v_fma_f64 v[148:149], s[18:19], v[158:159], v[146:147]
	v_add_f64 v[112:113], v[60:61], v[112:113]
	v_fma_f64 v[60:61], v[158:159], s[18:19], -v[146:147]
	v_mul_f64 v[146:147], v[58:59], s[24:25]
	v_fma_f64 v[58:59], v[14:15], s[12:13], -v[146:147]
	v_add_f64 v[168:169], v[168:169], v[178:179]
	v_add_f64 v[114:115], v[60:61], v[114:115]
	v_add_f64 v[60:61], v[58:59], v[140:141]
	v_mul_f64 v[140:141], v[26:27], s[24:25]
	v_add_f64 v[142:143], v[142:143], v[168:169]
	v_fma_f64 v[26:27], s[12:13], v[158:159], v[140:141]
	v_fmac_f64_e32 v[146:147], s[12:13], v[14:15]
	v_add_f64 v[58:59], v[26:27], v[142:143]
	v_add_f64 v[26:27], v[146:147], v[8:9]
	v_fma_f64 v[8:9], v[158:159], s[12:13], -v[140:141]
	v_add_f64 v[142:143], v[150:151], v[154:155]
	v_add_f64 v[150:151], v[150:151], -v[154:155]
	v_add_f64 v[166:167], v[166:167], v[174:175]
	v_add_f64 v[14:15], v[8:9], v[10:11]
	;; [unrolled: 1-line block ×3, first 2 shown]
	v_mul_f64 v[8:9], v[150:151], s[26:27]
	v_add_f64 v[160:161], v[160:161], v[166:167]
	v_add_f64 v[146:147], v[152:153], -v[156:157]
	v_fma_f64 v[10:11], v[140:141], s[18:19], -v[8:9]
	v_add_f64 v[148:149], v[148:149], v[160:161]
	v_add_f64 v[160:161], v[10:11], v[66:67]
	v_mul_f64 v[10:11], v[146:147], s[26:27]
	v_fmac_f64_e32 v[8:9], s[18:19], v[140:141]
	v_add_f64 v[156:157], v[8:9], v[62:63]
	v_fma_f64 v[8:9], v[142:143], s[18:19], -v[10:11]
	v_add_f64 v[158:159], v[8:9], v[64:65]
	v_mul_f64 v[8:9], v[150:151], s[30:31]
	v_fma_f64 v[66:67], s[18:19], v[142:143], v[10:11]
	v_fma_f64 v[10:11], v[140:141], s[0:1], -v[8:9]
	v_add_f64 v[168:169], v[10:11], v[72:73]
	v_mul_f64 v[10:11], v[146:147], s[30:31]
	v_fmac_f64_e32 v[8:9], s[0:1], v[140:141]
	v_add_f64 v[164:165], v[8:9], v[68:69]
	v_fma_f64 v[8:9], v[142:143], s[0:1], -v[10:11]
	v_add_f64 v[166:167], v[8:9], v[70:71]
	v_mul_f64 v[8:9], v[150:151], s[22:23]
	v_fma_f64 v[62:63], s[0:1], v[142:143], v[10:11]
	v_fma_f64 v[10:11], v[140:141], s[16:17], -v[8:9]
	v_add_f64 v[176:177], v[10:11], v[80:81]
	v_mul_f64 v[10:11], v[146:147], s[22:23]
	v_add_f64 v[170:171], v[62:63], v[86:87]
	v_fma_f64 v[62:63], s[16:17], v[142:143], v[10:11]
	v_add_f64 v[178:179], v[62:63], v[138:139]
	v_mul_f64 v[62:63], v[150:151], s[24:25]
	v_fma_f64 v[64:65], v[140:141], s[12:13], -v[62:63]
	v_add_f64 v[184:185], v[64:65], v[136:137]
	v_mul_f64 v[64:65], v[146:147], s[24:25]
	v_fmac_f64_e32 v[62:63], s[12:13], v[140:141]
	v_add_f64 v[180:181], v[62:63], v[112:113]
	v_fma_f64 v[62:63], v[142:143], s[12:13], -v[64:65]
	v_add_f64 v[182:183], v[62:63], v[114:115]
	v_mul_f64 v[62:63], v[150:151], s[20:21]
	v_add_f64 v[162:163], v[66:67], v[74:75]
	v_fma_f64 v[66:67], s[12:13], v[142:143], v[64:65]
	v_fma_f64 v[64:65], v[140:141], s[14:15], -v[62:63]
	v_add_f64 v[188:189], v[64:65], v[60:61]
	v_mul_f64 v[60:61], v[146:147], s[20:21]
	v_fma_f64 v[64:65], s[14:15], v[142:143], v[60:61]
	v_fmac_f64_e32 v[62:63], s[14:15], v[140:141]
	v_add_f64 v[190:191], v[64:65], v[58:59]
	v_add_f64 v[196:197], v[62:63], v[26:27]
	v_fma_f64 v[26:27], v[142:143], s[14:15], -v[60:61]
	v_add_f64 v[64:65], v[28:29], -v[12:13]
	v_add_f64 v[198:199], v[26:27], v[14:15]
	v_add_f64 v[146:147], v[90:91], v[54:55]
	v_add_f64 v[26:27], v[90:91], -v[54:55]
	v_mul_f64 v[14:15], v[64:65], s[28:29]
	v_add_f64 v[186:187], v[66:67], v[148:149]
	v_add_f64 v[200:201], v[28:29], v[12:13]
	v_mul_f64 v[58:59], v[26:27], s[28:29]
	v_fma_f64 v[60:61], s[0:1], v[146:147], v[14:15]
	v_add_f64 v[148:149], v[30:31], -v[56:57]
	v_fma_f64 v[10:11], v[142:143], s[16:17], -v[10:11]
	v_add_f64 v[66:67], v[0:1], v[60:61]
	v_fma_f64 v[60:61], v[200:201], s[0:1], -v[58:59]
	v_add_f64 v[212:213], v[16:17], v[52:53]
	v_add_f64 v[142:143], v[16:17], -v[52:53]
	v_mul_f64 v[202:203], v[148:149], s[38:39]
	v_add_f64 v[68:69], v[2:3], v[60:61]
	v_mul_f64 v[60:61], v[64:65], s[38:39]
	v_add_f64 v[214:215], v[30:31], v[56:57]
	v_mul_f64 v[204:205], v[142:143], s[38:39]
	v_fma_f64 v[150:151], s[12:13], v[212:213], v[202:203]
	v_mul_f64 v[62:63], v[26:27], s[38:39]
	v_fma_f64 v[70:71], s[12:13], v[146:147], v[60:61]
	v_add_f64 v[66:67], v[150:151], v[66:67]
	v_fma_f64 v[150:151], v[214:215], s[12:13], -v[204:205]
	v_mul_f64 v[206:207], v[148:149], s[22:23]
	v_add_f64 v[70:71], v[0:1], v[70:71]
	v_fma_f64 v[72:73], v[200:201], s[12:13], -v[62:63]
	v_add_f64 v[68:69], v[150:151], v[68:69]
	v_mul_f64 v[216:217], v[142:143], s[22:23]
	v_fma_f64 v[150:151], s[16:17], v[212:213], v[206:207]
	v_fmac_f64_e32 v[8:9], s[16:17], v[140:141]
	v_add_f64 v[72:73], v[2:3], v[72:73]
	v_mul_f64 v[74:75], v[64:65], s[20:21]
	v_add_f64 v[70:71], v[150:151], v[70:71]
	v_fma_f64 v[150:151], v[214:215], s[16:17], -v[216:217]
	v_add_f64 v[8:9], v[8:9], v[76:77]
	v_fma_f64 v[76:77], v[146:147], s[14:15], -v[74:75]
	v_add_f64 v[72:73], v[150:151], v[72:73]
	v_mul_f64 v[150:151], v[148:149], s[36:37]
	v_add_f64 v[10:11], v[10:11], v[78:79]
	v_add_f64 v[76:77], v[0:1], v[76:77]
	v_mul_f64 v[78:79], v[26:27], s[20:21]
	v_fmac_f64_e32 v[74:75], s[14:15], v[146:147]
	v_fma_f64 v[152:153], v[212:213], s[18:19], -v[150:151]
	v_fma_f64 v[80:81], s[14:15], v[200:201], v[78:79]
	v_add_f64 v[74:75], v[0:1], v[74:75]
	v_fma_f64 v[78:79], v[200:201], s[14:15], -v[78:79]
	v_add_f64 v[76:77], v[152:153], v[76:77]
	v_mul_f64 v[152:153], v[142:143], s[36:37]
	v_fmac_f64_e32 v[150:151], s[18:19], v[212:213]
	v_add_f64 v[78:79], v[2:3], v[78:79]
	v_mul_f64 v[86:87], v[64:65], s[22:23]
	v_add_f64 v[74:75], v[150:151], v[74:75]
	v_fma_f64 v[150:151], v[214:215], s[18:19], -v[152:153]
	v_fma_f64 v[112:113], v[146:147], s[16:17], -v[86:87]
	v_add_f64 v[78:79], v[150:151], v[78:79]
	v_mul_f64 v[150:151], v[148:149], s[34:35]
	v_add_f64 v[112:113], v[0:1], v[112:113]
	v_mul_f64 v[114:115], v[26:27], s[22:23]
	v_fmac_f64_e32 v[86:87], s[16:17], v[146:147]
	v_fma_f64 v[154:155], s[18:19], v[214:215], v[152:153]
	v_fma_f64 v[152:153], v[212:213], s[14:15], -v[150:151]
	v_fma_f64 v[136:137], s[16:17], v[200:201], v[114:115]
	v_add_f64 v[86:87], v[0:1], v[86:87]
	v_fma_f64 v[114:115], v[200:201], s[16:17], -v[114:115]
	v_mul_f64 v[64:65], v[64:65], s[26:27]
	v_add_f64 v[112:113], v[152:153], v[112:113]
	v_mul_f64 v[152:153], v[142:143], s[34:35]
	v_fmac_f64_e32 v[150:151], s[14:15], v[212:213]
	v_add_f64 v[114:115], v[2:3], v[114:115]
	v_fma_f64 v[138:139], v[146:147], s[18:19], -v[64:65]
	v_mul_f64 v[26:27], v[26:27], s[26:27]
	v_fmac_f64_e32 v[64:65], s[18:19], v[146:147]
	v_add_f64 v[86:87], v[150:151], v[86:87]
	v_fma_f64 v[150:151], v[214:215], s[14:15], -v[152:153]
	v_mul_f64 v[148:149], v[148:149], s[30:31]
	v_add_f64 v[138:139], v[0:1], v[138:139]
	v_fma_f64 v[140:141], s[18:19], v[200:201], v[26:27]
	v_add_f64 v[64:65], v[0:1], v[64:65]
	v_fma_f64 v[26:27], v[200:201], s[18:19], -v[26:27]
	v_add_f64 v[114:115], v[150:151], v[114:115]
	v_fma_f64 v[150:151], v[212:213], s[0:1], -v[148:149]
	v_mul_f64 v[142:143], v[142:143], s[30:31]
	v_fmac_f64_e32 v[148:149], s[0:1], v[212:213]
	v_add_f64 v[26:27], v[2:3], v[26:27]
	v_add_f64 v[138:139], v[150:151], v[138:139]
	v_fma_f64 v[150:151], s[0:1], v[214:215], v[142:143]
	v_add_f64 v[64:65], v[148:149], v[64:65]
	v_fma_f64 v[142:143], v[214:215], s[0:1], -v[142:143]
	v_add_f64 v[148:149], v[32:33], -v[50:51]
	v_add_f64 v[140:141], v[2:3], v[140:141]
	v_add_f64 v[26:27], v[142:143], v[26:27]
	;; [unrolled: 1-line block ×3, first 2 shown]
	v_add_f64 v[142:143], v[18:19], -v[42:43]
	v_mul_f64 v[218:219], v[148:149], s[20:21]
	v_add_f64 v[140:141], v[150:151], v[140:141]
	v_add_f64 v[226:227], v[32:33], v[50:51]
	v_mul_f64 v[220:221], v[142:143], s[20:21]
	v_fma_f64 v[150:151], s[14:15], v[224:225], v[218:219]
	v_add_f64 v[66:67], v[150:151], v[66:67]
	v_fma_f64 v[150:151], v[226:227], s[14:15], -v[220:221]
	v_mul_f64 v[222:223], v[148:149], s[36:37]
	v_add_f64 v[68:69], v[150:151], v[68:69]
	v_mul_f64 v[228:229], v[142:143], s[36:37]
	v_fma_f64 v[150:151], s[18:19], v[224:225], v[222:223]
	v_add_f64 v[70:71], v[150:151], v[70:71]
	v_fma_f64 v[150:151], v[226:227], s[18:19], -v[228:229]
	v_add_f64 v[80:81], v[2:3], v[80:81]
	v_add_f64 v[72:73], v[150:151], v[72:73]
	v_mul_f64 v[150:151], v[148:149], s[24:25]
	v_add_f64 v[80:81], v[154:155], v[80:81]
	v_fma_f64 v[154:155], s[14:15], v[214:215], v[152:153]
	v_fma_f64 v[152:153], v[224:225], s[12:13], -v[150:151]
	v_add_f64 v[76:77], v[152:153], v[76:77]
	v_mul_f64 v[152:153], v[142:143], s[24:25]
	v_fmac_f64_e32 v[150:151], s[12:13], v[224:225]
	v_add_f64 v[74:75], v[150:151], v[74:75]
	v_fma_f64 v[150:151], v[226:227], s[12:13], -v[152:153]
	v_add_f64 v[136:137], v[2:3], v[136:137]
	v_add_f64 v[78:79], v[150:151], v[78:79]
	v_mul_f64 v[150:151], v[148:149], s[28:29]
	v_add_f64 v[136:137], v[154:155], v[136:137]
	v_fma_f64 v[154:155], s[12:13], v[226:227], v[152:153]
	v_fma_f64 v[152:153], v[224:225], s[0:1], -v[150:151]
	v_add_f64 v[112:113], v[152:153], v[112:113]
	v_mul_f64 v[152:153], v[142:143], s[28:29]
	v_fmac_f64_e32 v[150:151], s[0:1], v[224:225]
	v_add_f64 v[86:87], v[150:151], v[86:87]
	v_fma_f64 v[150:151], v[226:227], s[0:1], -v[152:153]
	v_mul_f64 v[148:149], v[148:149], s[22:23]
	v_add_f64 v[114:115], v[150:151], v[114:115]
	v_fma_f64 v[150:151], v[224:225], s[16:17], -v[148:149]
	v_mul_f64 v[142:143], v[142:143], s[22:23]
	v_fmac_f64_e32 v[148:149], s[16:17], v[224:225]
	v_add_f64 v[192:193], v[22:23], -v[48:49]
	v_add_f64 v[138:139], v[150:151], v[138:139]
	v_fma_f64 v[150:151], s[16:17], v[226:227], v[142:143]
	v_add_f64 v[208:209], v[148:149], v[64:65]
	v_fma_f64 v[64:65], v[226:227], s[16:17], -v[142:143]
	v_add_f64 v[236:237], v[20:21], v[38:39]
	v_add_f64 v[142:143], v[20:21], -v[38:39]
	v_mul_f64 v[230:231], v[192:193], s[22:23]
	v_add_f64 v[26:27], v[64:65], v[26:27]
	v_add_f64 v[238:239], v[22:23], v[48:49]
	v_mul_f64 v[232:233], v[142:143], s[22:23]
	v_fma_f64 v[64:65], s[16:17], v[236:237], v[230:231]
	v_add_f64 v[250:251], v[64:65], v[66:67]
	v_fma_f64 v[64:65], v[238:239], s[16:17], -v[232:233]
	v_mul_f64 v[234:235], v[192:193], s[34:35]
	v_add_f64 v[68:69], v[64:65], v[68:69]
	v_mul_f64 v[240:241], v[142:143], s[34:35]
	v_fma_f64 v[64:65], s[14:15], v[236:237], v[234:235]
	v_add_f64 v[70:71], v[64:65], v[70:71]
	v_fma_f64 v[64:65], v[238:239], s[14:15], -v[240:241]
	v_mul_f64 v[148:149], v[192:193], s[28:29]
	v_add_f64 v[72:73], v[64:65], v[72:73]
	v_fma_f64 v[64:65], v[236:237], s[0:1], -v[148:149]
	v_add_f64 v[64:65], v[64:65], v[76:77]
	v_mul_f64 v[76:77], v[142:143], s[28:29]
	v_fmac_f64_e32 v[148:149], s[0:1], v[236:237]
	v_add_f64 v[148:149], v[148:149], v[74:75]
	v_fma_f64 v[74:75], v[238:239], s[0:1], -v[76:77]
	v_add_f64 v[140:141], v[150:151], v[140:141]
	v_add_f64 v[150:151], v[74:75], v[78:79]
	v_mul_f64 v[74:75], v[192:193], s[26:27]
	v_fma_f64 v[66:67], s[0:1], v[238:239], v[76:77]
	v_fma_f64 v[76:77], v[236:237], s[18:19], -v[74:75]
	v_add_f64 v[80:81], v[154:155], v[80:81]
	v_fma_f64 v[154:155], s[0:1], v[226:227], v[152:153]
	v_add_f64 v[152:153], v[76:77], v[112:113]
	v_mul_f64 v[76:77], v[142:143], s[26:27]
	v_fmac_f64_e32 v[74:75], s[18:19], v[236:237]
	v_add_f64 v[172:173], v[74:75], v[86:87]
	v_fma_f64 v[74:75], v[238:239], s[18:19], -v[76:77]
	v_add_f64 v[174:175], v[74:75], v[114:115]
	v_mul_f64 v[74:75], v[192:193], s[24:25]
	v_fma_f64 v[78:79], s[18:19], v[238:239], v[76:77]
	v_fma_f64 v[76:77], v[236:237], s[12:13], -v[74:75]
	v_add_f64 v[192:193], v[76:77], v[138:139]
	v_mul_f64 v[76:77], v[142:143], s[24:25]
	v_fmac_f64_e32 v[74:75], s[12:13], v[236:237]
	v_add_f64 v[208:209], v[74:75], v[208:209]
	v_fma_f64 v[74:75], v[238:239], s[12:13], -v[76:77]
	v_add_f64 v[210:211], v[74:75], v[26:27]
	v_add_f64 v[26:27], v[44:45], -v[46:47]
	v_add_f64 v[246:247], v[34:35], v[36:37]
	v_add_f64 v[254:255], v[34:35], -v[36:37]
	v_mul_f64 v[242:243], v[26:27], s[26:27]
	v_add_f64 v[136:137], v[154:155], v[136:137]
	v_add_f64 v[248:249], v[44:45], v[46:47]
	v_mul_f64 v[244:245], v[254:255], s[26:27]
	v_fma_f64 v[74:75], s[18:19], v[246:247], v[242:243]
	v_add_f64 v[154:155], v[78:79], v[136:137]
	v_add_f64 v[136:137], v[74:75], v[250:251]
	v_fma_f64 v[74:75], v[248:249], s[18:19], -v[244:245]
	v_mul_f64 v[250:251], v[26:27], s[30:31]
	v_fma_f64 v[78:79], s[12:13], v[238:239], v[76:77]
	v_add_f64 v[138:139], v[74:75], v[68:69]
	v_mul_f64 v[252:253], v[254:255], s[30:31]
	v_fma_f64 v[68:69], s[0:1], v[246:247], v[250:251]
	v_add_f64 v[194:195], v[78:79], v[140:141]
	v_add_f64 v[140:141], v[68:69], v[70:71]
	v_fma_f64 v[68:69], v[248:249], s[0:1], -v[252:253]
	v_add_f64 v[142:143], v[68:69], v[72:73]
	v_mul_f64 v[68:69], v[26:27], s[22:23]
	v_fma_f64 v[70:71], v[246:247], s[16:17], -v[68:69]
	v_add_f64 v[64:65], v[70:71], v[64:65]
	v_mul_f64 v[70:71], v[254:255], s[22:23]
	v_fmac_f64_e32 v[68:69], s[16:17], v[246:247]
	v_add_f64 v[148:149], v[68:69], v[148:149]
	v_fma_f64 v[68:69], v[248:249], s[16:17], -v[70:71]
	v_add_f64 v[150:151], v[68:69], v[150:151]
	v_mul_f64 v[68:69], v[26:27], s[24:25]
	v_fma_f64 v[72:73], s[16:17], v[248:249], v[70:71]
	v_fma_f64 v[70:71], v[246:247], s[12:13], -v[68:69]
	v_add_f64 v[152:153], v[70:71], v[152:153]
	v_mul_f64 v[70:71], v[254:255], s[24:25]
	v_fmac_f64_e32 v[68:69], s[12:13], v[246:247]
	v_add_f64 v[172:173], v[68:69], v[172:173]
	v_fma_f64 v[68:69], v[248:249], s[12:13], -v[70:71]
	v_mul_f64 v[26:27], v[26:27], s[20:21]
	v_add_f64 v[174:175], v[68:69], v[174:175]
	v_fma_f64 v[68:69], v[246:247], s[14:15], -v[26:27]
	v_add_f64 v[66:67], v[66:67], v[80:81]
	v_add_f64 v[192:193], v[68:69], v[192:193]
	v_mul_f64 v[68:69], v[254:255], s[20:21]
	v_fmac_f64_e32 v[26:27], s[14:15], v[246:247]
	v_add_f64 v[66:67], v[72:73], v[66:67]
	v_fma_f64 v[72:73], s[12:13], v[248:249], v[70:71]
	v_fma_f64 v[70:71], s[14:15], v[248:249], v[68:69]
	v_add_f64 v[208:209], v[26:27], v[208:209]
	v_fma_f64 v[26:27], v[248:249], s[14:15], -v[68:69]
	v_add_f64 v[154:155], v[72:73], v[154:155]
	v_add_f64 v[194:195], v[70:71], v[194:195]
	;; [unrolled: 1-line block ×3, first 2 shown]
	v_lshl_add_u32 v68, v24, 4, v83
	v_lshrrev_b32_e32 v84, 1, v40
	ds_write_b128 v68, v[4:7]
	ds_write_b128 v68, v[160:163] offset:32
	ds_write_b128 v68, v[168:171] offset:64
	;; [unrolled: 1-line block ×10, first 2 shown]
	s_and_saveexec_b64 s[20:21], vcc
	s_cbranch_execz .LBB0_5
; %bb.4:
	v_mul_f64 v[10:11], v[200:201], s[0:1]
	v_mul_f64 v[6:7], v[200:201], s[12:13]
	v_add_f64 v[6:7], v[62:63], v[6:7]
	v_add_f64 v[10:11], v[58:59], v[10:11]
	v_mul_f64 v[8:9], v[146:147], s[0:1]
	v_mul_f64 v[4:5], v[146:147], s[12:13]
	v_add_f64 v[6:7], v[2:3], v[6:7]
	v_add_f64 v[10:11], v[2:3], v[10:11]
	;; [unrolled: 1-line block ×3, first 2 shown]
	v_add_f64 v[4:5], v[4:5], -v[60:61]
	v_add_f64 v[8:9], v[8:9], -v[14:15]
	v_add_f64 v[2:3], v[2:3], v[30:31]
	v_add_f64 v[4:5], v[0:1], v[4:5]
	;; [unrolled: 1-line block ×5, first 2 shown]
	v_mul_f64 v[72:73], v[212:213], s[16:17]
	v_add_f64 v[2:3], v[2:3], v[22:23]
	v_add_f64 v[0:1], v[0:1], v[16:17]
	v_mul_f64 v[74:75], v[214:215], s[16:17]
	v_mul_f64 v[80:81], v[224:225], s[18:19]
	v_add_f64 v[72:73], v[72:73], -v[206:207]
	v_add_f64 v[2:3], v[2:3], v[44:45]
	v_add_f64 v[0:1], v[0:1], v[18:19]
	v_mul_f64 v[70:71], v[214:215], s[12:13]
	v_mul_f64 v[146:147], v[236:237], s[14:15]
	v_add_f64 v[74:75], v[216:217], v[74:75]
	v_add_f64 v[80:81], v[80:81], -v[222:223]
	v_add_f64 v[4:5], v[72:73], v[4:5]
	v_add_f64 v[2:3], v[2:3], v[46:47]
	;; [unrolled: 1-line block ×3, first 2 shown]
	v_mul_f64 v[78:79], v[226:227], s[14:15]
	v_mul_f64 v[162:163], v[246:247], s[0:1]
	v_add_f64 v[6:7], v[74:75], v[6:7]
	v_add_f64 v[74:75], v[146:147], -v[234:235]
	v_add_f64 v[4:5], v[80:81], v[4:5]
	v_add_f64 v[70:71], v[204:205], v[70:71]
	;; [unrolled: 1-line block ×4, first 2 shown]
	v_mul_f64 v[26:27], v[212:213], s[12:13]
	v_mul_f64 v[114:115], v[238:239], s[16:17]
	v_add_f64 v[62:63], v[162:163], -v[250:251]
	v_add_f64 v[4:5], v[74:75], v[4:5]
	v_add_f64 v[72:73], v[220:221], v[78:79]
	v_add_f64 v[10:11], v[70:71], v[10:11]
	v_add_f64 v[2:3], v[2:3], v[50:51]
	v_add_f64 v[0:1], v[0:1], v[36:37]
	v_mul_f64 v[76:77], v[224:225], s[14:15]
	v_mul_f64 v[86:87], v[226:227], s[18:19]
	;; [unrolled: 1-line block ×3, first 2 shown]
	v_add_f64 v[4:5], v[62:63], v[4:5]
	v_add_f64 v[62:63], v[232:233], v[114:115]
	v_add_f64 v[10:11], v[72:73], v[10:11]
	v_add_f64 v[26:27], v[26:27], -v[202:203]
	v_add_f64 v[2:3], v[2:3], v[56:57]
	v_add_f64 v[0:1], v[0:1], v[38:39]
	v_mul_f64 v[112:113], v[236:237], s[16:17]
	v_mul_f64 v[156:157], v[238:239], s[14:15]
	v_add_f64 v[86:87], v[228:229], v[86:87]
	v_add_f64 v[60:61], v[244:245], v[160:161]
	;; [unrolled: 1-line block ×3, first 2 shown]
	v_add_f64 v[62:63], v[76:77], -v[218:219]
	v_add_f64 v[8:9], v[26:27], v[8:9]
	v_add_f64 v[2:3], v[2:3], v[12:13]
	;; [unrolled: 1-line block ×3, first 2 shown]
	v_mul_u32_u24_e32 v12, 22, v84
	v_accvgpr_read_b32 v13, a58
	v_mul_f64 v[158:159], v[246:247], s[18:19]
	v_mul_f64 v[164:165], v[248:249], s[0:1]
	v_add_f64 v[156:157], v[240:241], v[156:157]
	v_add_f64 v[6:7], v[86:87], v[6:7]
	;; [unrolled: 1-line block ×3, first 2 shown]
	v_add_f64 v[60:61], v[112:113], -v[230:231]
	v_add_f64 v[8:9], v[62:63], v[8:9]
	v_add_f64 v[0:1], v[0:1], v[52:53]
	v_or_b32_e32 v12, v12, v13
	v_add_f64 v[164:165], v[252:253], v[164:165]
	v_add_f64 v[6:7], v[156:157], v[6:7]
	v_add_f64 v[58:59], v[158:159], -v[242:243]
	v_add_f64 v[8:9], v[60:61], v[8:9]
	v_add_f64 v[0:1], v[0:1], v[54:55]
	v_lshl_add_u32 v12, v12, 4, v83
	v_add_f64 v[6:7], v[164:165], v[6:7]
	v_add_f64 v[8:9], v[58:59], v[8:9]
	ds_write_b128 v12, v[0:3]
	ds_write_b128 v12, v[8:11] offset:32
	ds_write_b128 v12, v[4:7] offset:64
	;; [unrolled: 1-line block ×10, first 2 shown]
.LBB0_5:
	s_or_b64 exec, exec, s[20:21]
	v_lshrrev_b16_e32 v41, 1, v88
	v_and_b32_e32 v41, 0x7f, v41
	v_mul_lo_u16_e32 v41, 0xbb, v41
	v_lshrrev_b16_e32 v41, 11, v41
	v_mul_lo_u16_e32 v44, 22, v41
	v_sub_u16_e32 v44, v88, v44
	v_and_b32_e32 v69, 0xff, v44
	s_movk_i32 s26, 0x60
	v_mov_b64_e32 v[44:45], s[10:11]
	v_lshlrev_b32_e32 v24, 4, v88
	v_mad_u64_u32 v[70:71], s[0:1], v69, s26, v[44:45]
	v_lshl_add_u64 v[42:43], s[8:9], 0, v[24:25]
	s_waitcnt lgkmcnt(0)
	s_barrier
	ds_read_b128 v[4:7], v145
	ds_read_b128 v[48:51], v145 offset:2464
	ds_read_b128 v[52:55], v145 offset:4928
	;; [unrolled: 1-line block ×13, first 2 shown]
	global_load_dwordx4 v[156:159], v[70:71], off offset:368
	global_load_dwordx4 v[160:163], v[70:71], off offset:352
	;; [unrolled: 1-line block ×6, first 2 shown]
	s_mov_b32 s8, 0x37e14327
	s_mov_b32 s12, 0xe976ee23
	;; [unrolled: 1-line block ×18, first 2 shown]
	v_mov_b32_e32 v82, v88
	s_waitcnt vmcnt(1) lgkmcnt(7)
	v_mul_f64 v[146:147], v[32:33], v[178:179]
	v_mul_f64 v[46:47], v[50:51], v[170:171]
	v_fma_f64 v[46:47], v[48:49], v[168:169], -v[46:47]
	v_mul_f64 v[48:49], v[48:49], v[170:171]
	v_fmac_f64_e32 v[48:49], v[50:51], v[168:169]
	v_mul_f64 v[50:51], v[54:55], v[166:167]
	v_fma_f64 v[50:51], v[52:53], v[164:165], -v[50:51]
	v_mul_f64 v[52:53], v[52:53], v[166:167]
	v_fmac_f64_e32 v[52:53], v[54:55], v[164:165]
	;; [unrolled: 4-line block ×4, first 2 shown]
	s_waitcnt vmcnt(0)
	v_mul_f64 v[62:63], v[38:39], v[182:183]
	v_fma_f64 v[62:63], v[36:37], v[180:181], -v[62:63]
	v_mul_f64 v[36:37], v[36:37], v[182:183]
	v_fmac_f64_e32 v[36:37], v[38:39], v[180:181]
	v_mul_f64 v[38:39], v[34:35], v[178:179]
	v_fma_f64 v[38:39], v[32:33], v[176:177], -v[38:39]
	v_lshrrev_b16_e32 v32, 1, v40
	v_and_b32_e32 v32, 0x7f, v32
	v_mul_lo_u16_e32 v32, 0xbb, v32
	v_fmac_f64_e32 v[146:147], v[34:35], v[176:177]
	v_lshrrev_b16_e32 v34, 11, v32
	v_mul_lo_u16_e32 v32, 22, v34
	v_sub_u16_e32 v32, v40, v32
	v_and_b32_e32 v35, 0xff, v32
	v_mad_u64_u32 v[70:71], s[0:1], v35, s26, v[44:45]
	global_load_dwordx4 v[184:187], v[70:71], off offset:368
	global_load_dwordx4 v[188:191], v[70:71], off offset:352
	;; [unrolled: 1-line block ×6, first 2 shown]
	s_mov_b32 s0, 0x36b3c0b5
	s_mov_b32 s1, 0x3fac98ee
	s_waitcnt lgkmcnt(0)
	s_barrier
	s_waitcnt vmcnt(1)
	v_mul_f64 v[74:75], v[8:9], v[202:203]
	v_mul_f64 v[32:33], v[30:31], v[206:207]
	v_fma_f64 v[32:33], v[28:29], v[204:205], -v[32:33]
	v_mul_f64 v[28:29], v[28:29], v[206:207]
	v_fmac_f64_e32 v[28:29], v[30:31], v[204:205]
	v_mul_f64 v[30:31], v[26:27], v[198:199]
	v_fma_f64 v[30:31], v[24:25], v[196:197], -v[30:31]
	v_mul_f64 v[24:25], v[24:25], v[198:199]
	v_fmac_f64_e32 v[24:25], v[26:27], v[196:197]
	;; [unrolled: 4-line block ×4, first 2 shown]
	s_waitcnt vmcnt(0)
	v_mul_f64 v[18:19], v[14:15], v[214:215]
	v_fma_f64 v[18:19], v[12:13], v[212:213], -v[18:19]
	v_mul_f64 v[70:71], v[12:13], v[214:215]
	v_mul_f64 v[12:13], v[10:11], v[202:203]
	v_fma_f64 v[72:73], v[8:9], v[200:201], -v[12:13]
	v_add_f64 v[8:9], v[46:47], v[38:39]
	v_add_f64 v[12:13], v[46:47], -v[38:39]
	v_add_f64 v[38:39], v[50:51], v[62:63]
	v_fmac_f64_e32 v[70:71], v[14:15], v[212:213]
	v_fmac_f64_e32 v[74:75], v[10:11], v[200:201]
	v_add_f64 v[10:11], v[48:49], v[146:147]
	v_add_f64 v[14:15], v[48:49], -v[146:147]
	v_add_f64 v[46:47], v[52:53], v[36:37]
	v_add_f64 v[48:49], v[50:51], -v[62:63]
	;; [unrolled: 2-line block ×6, first 2 shown]
	v_add_f64 v[8:9], v[8:9], -v[50:51]
	v_add_f64 v[38:39], v[50:51], -v[38:39]
	v_add_f64 v[50:51], v[50:51], v[58:59]
	v_add_f64 v[76:77], v[46:47], -v[10:11]
	v_add_f64 v[10:11], v[10:11], -v[52:53]
	;; [unrolled: 1-line block ×3, first 2 shown]
	v_add_f64 v[52:53], v[52:53], v[60:61]
	v_add_f64 v[4:5], v[4:5], v[50:51]
	;; [unrolled: 1-line block ×4, first 2 shown]
	v_add_f64 v[86:87], v[54:55], -v[48:49]
	v_add_f64 v[112:113], v[56:57], -v[36:37]
	;; [unrolled: 1-line block ×3, first 2 shown]
	v_add_f64 v[6:7], v[6:7], v[52:53]
	v_mov_b64_e32 v[114:115], v[4:5]
	v_add_f64 v[54:55], v[12:13], -v[54:55]
	v_add_f64 v[56:57], v[14:15], -v[56:57]
	;; [unrolled: 1-line block ×3, first 2 shown]
	v_add_f64 v[12:13], v[78:79], v[12:13]
	v_add_f64 v[14:15], v[80:81], v[14:15]
	v_mul_f64 v[8:9], v[8:9], s[8:9]
	v_mul_f64 v[10:11], v[10:11], s[8:9]
	;; [unrolled: 1-line block ×7, first 2 shown]
	v_fmac_f64_e32 v[114:115], s[14:15], v[50:51]
	v_mov_b64_e32 v[50:51], v[6:7]
	v_mul_f64 v[112:113], v[36:37], s[10:11]
	v_fmac_f64_e32 v[50:51], s[14:15], v[52:53]
	v_fma_f64 v[52:53], v[62:63], s[16:17], -v[58:59]
	v_fma_f64 v[58:59], v[76:77], s[16:17], -v[60:61]
	;; [unrolled: 1-line block ×3, first 2 shown]
	v_fmac_f64_e32 v[8:9], s[0:1], v[38:39]
	v_fma_f64 v[38:39], v[76:77], s[18:19], -v[10:11]
	v_fmac_f64_e32 v[10:11], s[0:1], v[46:47]
	v_fma_f64 v[48:49], v[48:49], s[10:11], -v[78:79]
	;; [unrolled: 2-line block ×4, first 2 shown]
	v_fma_f64 v[56:57], v[56:57], s[24:25], -v[112:113]
	v_add_f64 v[62:63], v[8:9], v[114:115]
	v_add_f64 v[52:53], v[52:53], v[114:115]
	;; [unrolled: 1-line block ×4, first 2 shown]
	v_fmac_f64_e32 v[80:81], s[22:23], v[14:15]
	v_fmac_f64_e32 v[48:49], s[22:23], v[12:13]
	;; [unrolled: 1-line block ×4, first 2 shown]
	v_add_f64 v[60:61], v[60:61], v[114:115]
	v_fmac_f64_e32 v[56:57], s[22:23], v[14:15]
	v_add_f64 v[8:9], v[80:81], v[62:63]
	v_add_f64 v[14:15], v[86:87], -v[54:55]
	v_add_f64 v[36:37], v[52:53], -v[46:47]
	v_add_f64 v[38:39], v[48:49], v[58:59]
	v_add_f64 v[46:47], v[46:47], v[52:53]
	v_add_f64 v[48:49], v[58:59], -v[48:49]
	v_add_f64 v[52:53], v[54:55], v[86:87]
	v_add_f64 v[54:55], v[62:63], -v[80:81]
	v_add_f64 v[58:59], v[32:33], v[72:73]
	v_add_f64 v[62:63], v[30:31], v[18:19]
	;; [unrolled: 1-line block ×3, first 2 shown]
	v_fmac_f64_e32 v[78:79], s[22:23], v[12:13]
	v_add_f64 v[12:13], v[56:57], v[60:61]
	v_add_f64 v[50:51], v[60:61], -v[56:57]
	v_add_f64 v[60:61], v[28:29], v[74:75]
	v_add_f64 v[32:33], v[32:33], -v[72:73]
	;; [unrolled: 2-line block ×3, first 2 shown]
	v_add_f64 v[24:25], v[24:25], -v[70:71]
	v_add_f64 v[30:31], v[26:27], v[22:23]
	v_add_f64 v[70:71], v[20:21], v[16:17]
	v_add_f64 v[16:17], v[16:17], -v[20:21]
	v_add_f64 v[20:21], v[62:63], v[58:59]
	v_add_f64 v[22:23], v[22:23], -v[26:27]
	v_add_f64 v[26:27], v[72:73], v[60:61]
	v_add_f64 v[20:21], v[30:31], v[20:21]
	;; [unrolled: 1-line block ×4, first 2 shown]
	v_add_f64 v[10:11], v[76:77], -v[78:79]
	v_add_f64 v[56:57], v[78:79], v[76:77]
	v_add_f64 v[28:29], v[28:29], -v[74:75]
	v_add_f64 v[74:75], v[62:63], -v[58:59]
	;; [unrolled: 1-line block ×7, first 2 shown]
	v_add_f64 v[78:79], v[22:23], v[18:19]
	v_add_f64 v[80:81], v[16:17], v[24:25]
	v_add_f64 v[112:113], v[16:17], -v[24:25]
	v_add_f64 v[2:3], v[2:3], v[26:27]
	v_mov_b64_e32 v[114:115], v[0:1]
	v_add_f64 v[86:87], v[22:23], -v[18:19]
	v_add_f64 v[22:23], v[32:33], -v[22:23]
	;; [unrolled: 1-line block ×5, first 2 shown]
	v_add_f64 v[30:31], v[78:79], v[32:33]
	v_add_f64 v[28:29], v[80:81], v[28:29]
	v_mul_f64 v[32:33], v[58:59], s[8:9]
	v_mul_f64 v[58:59], v[60:61], s[8:9]
	;; [unrolled: 1-line block ×5, first 2 shown]
	v_fmac_f64_e32 v[114:115], s[14:15], v[20:21]
	v_mov_b64_e32 v[20:21], v[2:3]
	v_fmac_f64_e32 v[20:21], s[14:15], v[26:27]
	v_fma_f64 v[26:27], v[74:75], s[16:17], -v[60:61]
	v_fma_f64 v[60:61], v[76:77], s[16:17], -v[70:71]
	;; [unrolled: 1-line block ×3, first 2 shown]
	v_fmac_f64_e32 v[32:33], s[0:1], v[62:63]
	v_fma_f64 v[74:75], v[24:25], s[10:11], -v[80:81]
	v_fmac_f64_e32 v[80:81], s[20:21], v[16:17]
	v_mul_f64 v[78:79], v[86:87], s[12:13]
	v_mul_f64 v[86:87], v[18:19], s[10:11]
	;; [unrolled: 1-line block ×3, first 2 shown]
	v_add_f64 v[32:33], v[32:33], v[114:115]
	v_fmac_f64_e32 v[80:81], s[22:23], v[28:29]
	v_fma_f64 v[62:63], v[76:77], s[18:19], -v[58:59]
	v_fmac_f64_e32 v[58:59], s[0:1], v[72:73]
	v_fma_f64 v[72:73], v[18:19], s[10:11], -v[78:79]
	v_fmac_f64_e32 v[78:79], s[20:21], v[22:23]
	v_fma_f64 v[76:77], v[22:23], s[24:25], -v[86:87]
	v_fma_f64 v[86:87], v[16:17], s[24:25], -v[112:113]
	v_add_f64 v[16:17], v[80:81], v[32:33]
	v_add_f64 v[216:217], v[32:33], -v[80:81]
	v_mul_u32_u24_e32 v32, 0x9a, v41
	v_add_f64 v[112:113], v[58:59], v[20:21]
	v_fmac_f64_e32 v[78:79], s[22:23], v[30:31]
	v_add_u32_e32 v32, v32, v69
	v_add_f64 v[18:19], v[112:113], -v[78:79]
	v_add_f64 v[218:219], v[78:79], v[112:113]
	v_lshl_add_u32 v112, v32, 4, v83
	ds_write_b128 v112, v[4:7]
	ds_write_b128 v112, v[8:11] offset:352
	ds_write_b128 v112, v[12:15] offset:704
	;; [unrolled: 1-line block ×6, first 2 shown]
	v_mul_u32_u24_e32 v4, 0x9a, v34
	v_add_f64 v[58:59], v[26:27], v[114:115]
	v_add_f64 v[60:61], v[60:61], v[20:21]
	;; [unrolled: 1-line block ×4, first 2 shown]
	v_fmac_f64_e32 v[72:73], s[22:23], v[30:31]
	v_fmac_f64_e32 v[74:75], s[22:23], v[28:29]
	;; [unrolled: 1-line block ×4, first 2 shown]
	v_add_u32_e32 v4, v4, v35
	v_add_f64 v[20:21], v[86:87], v[70:71]
	v_add_f64 v[22:23], v[62:63], -v[76:77]
	v_add_f64 v[24:25], v[58:59], -v[74:75]
	v_add_f64 v[26:27], v[72:73], v[60:61]
	v_add_f64 v[28:29], v[74:75], v[58:59]
	v_add_f64 v[30:31], v[60:61], -v[72:73]
	v_add_f64 v[58:59], v[70:71], -v[86:87]
	v_lshl_add_u32 v113, v4, 4, v83
	v_mad_u64_u32 v[70:71], s[26:27], v82, s26, v[44:45]
	v_add_f64 v[60:61], v[76:77], v[62:63]
	ds_write_b128 v113, v[0:3]
	ds_write_b128 v113, v[16:19] offset:352
	ds_write_b128 v113, v[20:23] offset:704
	;; [unrolled: 1-line block ×6, first 2 shown]
	s_waitcnt lgkmcnt(0)
	s_barrier
	ds_read_b128 v[12:15], v145
	ds_read_b128 v[38:41], v145 offset:2464
	ds_read_b128 v[46:49], v145 offset:4928
	ds_read_b128 v[50:53], v145 offset:7392
	ds_read_b128 v[54:57], v145 offset:9856
	ds_read_b128 v[32:35], v145 offset:12320
	ds_read_b128 v[0:3], v145 offset:14784
	ds_read_b128 v[8:11], v145 offset:1232
	ds_read_b128 v[28:31], v145 offset:3696
	ds_read_b128 v[24:27], v145 offset:6160
	ds_read_b128 v[252:255], v145 offset:8624
	ds_read_b128 v[4:7], v145 offset:11088
	ds_read_b128 v[20:23], v145 offset:13552
	ds_read_b128 v[16:19], v145 offset:16016
	global_load_dwordx4 v[216:219], v[70:71], off offset:2480
	global_load_dwordx4 v[220:223], v[70:71], off offset:2464
	;; [unrolled: 1-line block ×6, first 2 shown]
	s_mov_b64 s[26:27], 0x1ce0
	v_lshl_add_u64 v[70:71], v[70:71], 0, s[26:27]
	s_waitcnt vmcnt(3) lgkmcnt(11)
	v_mul_f64 v[44:45], v[46:47], v[226:227]
	s_waitcnt vmcnt(2)
	v_mul_f64 v[36:37], v[40:41], v[234:235]
	v_fma_f64 v[36:37], v[38:39], v[232:233], -v[36:37]
	v_mul_f64 v[38:39], v[38:39], v[234:235]
	v_fmac_f64_e32 v[38:39], v[40:41], v[232:233]
	v_mul_f64 v[40:41], v[48:49], v[226:227]
	v_fma_f64 v[40:41], v[46:47], v[224:225], -v[40:41]
	s_waitcnt lgkmcnt(10)
	v_mul_f64 v[46:47], v[52:53], v[222:223]
	v_fmac_f64_e32 v[44:45], v[48:49], v[224:225]
	v_fma_f64 v[46:47], v[50:51], v[220:221], -v[46:47]
	v_mul_f64 v[48:49], v[50:51], v[222:223]
	s_waitcnt lgkmcnt(9)
	v_mul_f64 v[50:51], v[56:57], v[218:219]
	v_fmac_f64_e32 v[48:49], v[52:53], v[220:221]
	v_fma_f64 v[50:51], v[54:55], v[216:217], -v[50:51]
	v_mul_f64 v[52:53], v[54:55], v[218:219]
	s_waitcnt vmcnt(0) lgkmcnt(8)
	v_mul_f64 v[54:55], v[34:35], v[238:239]
	v_fma_f64 v[58:59], v[32:33], v[236:237], -v[54:55]
	v_mul_f64 v[60:61], v[32:33], v[238:239]
	s_waitcnt lgkmcnt(7)
	v_mul_f64 v[32:33], v[2:3], v[230:231]
	v_mul_f64 v[146:147], v[0:1], v[230:231]
	v_fma_f64 v[62:63], v[0:1], v[228:229], -v[32:33]
	v_fmac_f64_e32 v[146:147], v[2:3], v[228:229]
	global_load_dwordx4 v[240:243], v[70:71], off offset:2480
	global_load_dwordx4 v[244:247], v[70:71], off offset:2464
	;; [unrolled: 1-line block ×4, first 2 shown]
	v_fmac_f64_e32 v[52:53], v[56:57], v[216:217]
	v_fmac_f64_e32 v[60:61], v[34:35], v[236:237]
	s_waitcnt vmcnt(3) lgkmcnt(2)
	v_mul_f64 v[54:55], v[6:7], v[242:243]
	s_waitcnt vmcnt(2)
	v_mul_f64 v[34:35], v[252:253], v[246:247]
	v_mul_f64 v[56:57], v[4:5], v[242:243]
	s_waitcnt vmcnt(0)
	v_mul_f64 v[32:33], v[30:31], v[2:3]
	v_fma_f64 v[32:33], v[28:29], v[0:1], -v[32:33]
	v_mul_f64 v[28:29], v[28:29], v[2:3]
	v_fmac_f64_e32 v[28:29], v[30:31], v[0:1]
	v_mul_f64 v[30:31], v[26:27], v[250:251]
	v_fma_f64 v[30:31], v[24:25], v[248:249], -v[30:31]
	v_mul_f64 v[24:25], v[24:25], v[250:251]
	v_fmac_f64_e32 v[24:25], v[26:27], v[248:249]
	v_mul_f64 v[26:27], v[254:255], v[246:247]
	v_fma_f64 v[26:27], v[252:253], v[244:245], -v[26:27]
	v_fmac_f64_e32 v[34:35], v[254:255], v[244:245]
	v_fma_f64 v[54:55], v[4:5], v[240:241], -v[54:55]
	v_fmac_f64_e32 v[56:57], v[6:7], v[240:241]
	global_load_dwordx4 v[252:255], v[70:71], off offset:2512
	global_load_dwordx4 v[4:7], v[70:71], off offset:2496
	s_waitcnt vmcnt(1) lgkmcnt(0)
	v_mul_f64 v[76:77], v[16:17], v[254:255]
	s_waitcnt vmcnt(0)
	v_mul_f64 v[70:71], v[22:23], v[6:7]
	v_fma_f64 v[70:71], v[20:21], v[4:5], -v[70:71]
	v_mul_f64 v[72:73], v[20:21], v[6:7]
	v_mul_f64 v[20:21], v[18:19], v[254:255]
	v_fma_f64 v[74:75], v[16:17], v[252:253], -v[20:21]
	v_add_f64 v[16:17], v[36:37], v[62:63]
	v_add_f64 v[20:21], v[36:37], -v[62:63]
	v_add_f64 v[36:37], v[40:41], v[58:59]
	v_fmac_f64_e32 v[72:73], v[22:23], v[4:5]
	v_fmac_f64_e32 v[76:77], v[18:19], v[252:253]
	v_add_f64 v[18:19], v[38:39], v[146:147]
	v_add_f64 v[22:23], v[38:39], -v[146:147]
	v_add_f64 v[38:39], v[44:45], v[60:61]
	v_add_f64 v[40:41], v[40:41], -v[58:59]
	;; [unrolled: 2-line block ×5, first 2 shown]
	v_add_f64 v[52:53], v[38:39], v[18:19]
	v_add_f64 v[50:51], v[58:59], v[50:51]
	;; [unrolled: 1-line block ×4, first 2 shown]
	v_add_f64 v[62:63], v[36:37], -v[16:17]
	v_add_f64 v[78:79], v[38:39], -v[18:19]
	;; [unrolled: 1-line block ×6, first 2 shown]
	v_add_f64 v[80:81], v[46:47], v[40:41]
	v_add_f64 v[86:87], v[48:49], v[44:45]
	v_add_f64 v[114:115], v[46:47], -v[40:41]
	v_add_f64 v[146:147], v[48:49], -v[44:45]
	;; [unrolled: 1-line block ×3, first 2 shown]
	v_add_f64 v[14:15], v[14:15], v[52:53]
	v_mov_b64_e32 v[88:89], v[12:13]
	v_add_f64 v[46:47], v[20:21], -v[46:47]
	v_add_f64 v[48:49], v[22:23], -v[48:49]
	;; [unrolled: 1-line block ×3, first 2 shown]
	v_add_f64 v[20:21], v[80:81], v[20:21]
	v_add_f64 v[22:23], v[86:87], v[22:23]
	v_mul_f64 v[16:17], v[16:17], s[8:9]
	v_mul_f64 v[18:19], v[18:19], s[8:9]
	v_mul_f64 v[58:59], v[36:37], s[0:1]
	v_mul_f64 v[60:61], v[38:39], s[0:1]
	v_mul_f64 v[80:81], v[114:115], s[12:13]
	v_mul_f64 v[86:87], v[146:147], s[12:13]
	v_mul_f64 v[114:115], v[40:41], s[10:11]
	v_fmac_f64_e32 v[88:89], s[14:15], v[50:51]
	v_mov_b64_e32 v[50:51], v[14:15]
	v_mul_f64 v[146:147], v[44:45], s[10:11]
	v_fmac_f64_e32 v[50:51], s[14:15], v[52:53]
	v_fma_f64 v[52:53], v[62:63], s[16:17], -v[58:59]
	v_fma_f64 v[58:59], v[78:79], s[16:17], -v[60:61]
	;; [unrolled: 1-line block ×3, first 2 shown]
	v_fmac_f64_e32 v[16:17], s[0:1], v[36:37]
	v_fma_f64 v[36:37], v[78:79], s[18:19], -v[18:19]
	v_fmac_f64_e32 v[18:19], s[0:1], v[38:39]
	v_fma_f64 v[40:41], v[40:41], s[10:11], -v[80:81]
	v_fma_f64 v[44:45], v[44:45], s[10:11], -v[86:87]
	;; [unrolled: 1-line block ×3, first 2 shown]
	v_fmac_f64_e32 v[80:81], s[20:21], v[46:47]
	v_fmac_f64_e32 v[86:87], s[20:21], v[48:49]
	v_fma_f64 v[48:49], v[48:49], s[24:25], -v[146:147]
	v_add_f64 v[90:91], v[18:19], v[50:51]
	v_add_f64 v[46:47], v[52:53], v[88:89]
	v_add_f64 v[52:53], v[58:59], v[50:51]
	v_add_f64 v[50:51], v[36:37], v[50:51]
	v_fmac_f64_e32 v[40:41], s[22:23], v[20:21]
	v_fmac_f64_e32 v[44:45], s[22:23], v[22:23]
	;; [unrolled: 1-line block ×5, first 2 shown]
	v_add_f64 v[22:23], v[50:51], -v[62:63]
	v_add_f64 v[36:37], v[46:47], -v[44:45]
	v_add_f64 v[38:39], v[40:41], v[52:53]
	v_add_f64 v[44:45], v[44:45], v[46:47]
	v_add_f64 v[46:47], v[52:53], -v[40:41]
	v_add_f64 v[50:51], v[62:63], v[50:51]
	v_add_f64 v[40:41], v[32:33], v[74:75]
	;; [unrolled: 1-line block ×4, first 2 shown]
	v_add_f64 v[32:33], v[32:33], -v[74:75]
	v_add_f64 v[74:75], v[24:25], v[72:73]
	v_add_f64 v[30:31], v[30:31], -v[70:71]
	v_add_f64 v[70:71], v[26:27], v[54:55]
	;; [unrolled: 2-line block ×5, first 2 shown]
	v_add_f64 v[54:55], v[70:71], v[54:55]
	v_add_f64 v[78:79], v[16:17], v[88:89]
	;; [unrolled: 1-line block ×3, first 2 shown]
	v_fmac_f64_e32 v[80:81], s[22:23], v[20:21]
	v_add_f64 v[28:29], v[28:29], -v[76:77]
	v_add_f64 v[56:57], v[72:73], v[56:57]
	v_add_f64 v[8:9], v[8:9], v[54:55]
	;; [unrolled: 1-line block ×3, first 2 shown]
	v_add_f64 v[18:19], v[90:91], -v[80:81]
	v_add_f64 v[20:21], v[48:49], v[58:59]
	v_add_f64 v[48:49], v[58:59], -v[48:49]
	v_add_f64 v[58:59], v[78:79], -v[86:87]
	v_add_f64 v[60:61], v[80:81], v[90:91]
	v_add_f64 v[76:77], v[62:63], -v[40:41]
	v_add_f64 v[78:79], v[74:75], -v[52:53]
	;; [unrolled: 1-line block ×6, first 2 shown]
	v_add_f64 v[80:81], v[26:27], v[30:31]
	v_add_f64 v[86:87], v[34:35], v[24:25]
	v_add_f64 v[88:89], v[26:27], -v[30:31]
	v_add_f64 v[90:91], v[34:35], -v[24:25]
	;; [unrolled: 1-line block ×4, first 2 shown]
	v_add_f64 v[10:11], v[10:11], v[56:57]
	v_mov_b64_e32 v[114:115], v[8:9]
	v_add_f64 v[26:27], v[32:33], -v[26:27]
	v_add_f64 v[34:35], v[28:29], -v[34:35]
	v_add_f64 v[32:33], v[80:81], v[32:33]
	v_add_f64 v[28:29], v[86:87], v[28:29]
	v_mul_f64 v[40:41], v[40:41], s[8:9]
	v_mul_f64 v[52:53], v[52:53], s[8:9]
	;; [unrolled: 1-line block ×8, first 2 shown]
	v_fmac_f64_e32 v[114:115], s[14:15], v[54:55]
	v_mov_b64_e32 v[54:55], v[10:11]
	v_fmac_f64_e32 v[54:55], s[14:15], v[56:57]
	v_fma_f64 v[56:57], s[0:1], v[62:63], v[40:41]
	v_fma_f64 v[62:63], v[76:77], s[16:17], -v[70:71]
	v_fma_f64 v[70:71], v[78:79], s[16:17], -v[72:73]
	;; [unrolled: 1-line block ×4, first 2 shown]
	v_fmac_f64_e32 v[52:53], s[0:1], v[74:75]
	v_fma_f64 v[146:147], s[20:21], v[26:27], v[80:81]
	v_fma_f64 v[74:75], v[30:31], s[10:11], -v[80:81]
	v_fma_f64 v[76:77], v[24:25], s[10:11], -v[86:87]
	v_fmac_f64_e32 v[86:87], s[20:21], v[34:35]
	v_fma_f64 v[78:79], v[26:27], s[24:25], -v[88:89]
	v_fma_f64 v[80:81], v[34:35], s[24:25], -v[90:91]
	v_add_f64 v[56:57], v[56:57], v[114:115]
	v_add_f64 v[88:89], v[52:53], v[54:55]
	;; [unrolled: 1-line block ×6, first 2 shown]
	v_fmac_f64_e32 v[146:147], s[22:23], v[32:33]
	v_fmac_f64_e32 v[86:87], s[22:23], v[28:29]
	;; [unrolled: 1-line block ×6, first 2 shown]
	v_lshl_add_u32 v114, v82, 4, v83
	s_mov_b64 s[0:1], 0x4360
	v_add_f64 v[24:25], v[86:87], v[56:57]
	v_add_f64 v[26:27], v[88:89], -v[146:147]
	v_add_f64 v[28:29], v[80:81], v[40:41]
	v_add_f64 v[30:31], v[70:71], -v[78:79]
	v_add_f64 v[32:33], v[52:53], -v[76:77]
	v_add_f64 v[34:35], v[74:75], v[62:63]
	v_add_f64 v[52:53], v[76:77], v[52:53]
	v_add_f64 v[54:55], v[62:63], -v[74:75]
	v_add_f64 v[74:75], v[40:41], -v[80:81]
	v_add_f64 v[76:77], v[78:79], v[70:71]
	v_add_f64 v[78:79], v[56:57], -v[86:87]
	v_add_f64 v[80:81], v[146:147], v[88:89]
	ds_write_b128 v145, v[12:15]
	ds_write_b128 v145, v[16:19] offset:2464
	ds_write_b128 v145, v[20:23] offset:4928
	;; [unrolled: 1-line block ×13, first 2 shown]
	v_lshl_add_u64 v[10:11], v[42:43], 0, s[0:1]
	s_movk_i32 s0, 0x4000
	v_add_co_u32_e64 v8, s[0:1], s0, v42
	s_waitcnt lgkmcnt(0)
	s_nop 0
	v_addc_co_u32_e64 v9, s[0:1], 0, v43, s[0:1]
	s_barrier
	global_load_dwordx4 v[16:19], v[8:9], off offset:864
	ds_read_b128 v[12:15], v145
	s_movk_i32 s0, 0x6000
	s_waitcnt vmcnt(0) lgkmcnt(0)
	v_mul_f64 v[8:9], v[14:15], v[18:19]
	v_fma_f64 v[20:21], v[12:13], v[16:17], -v[8:9]
	v_add_co_u32_e64 v8, s[0:1], s0, v42
	v_mul_f64 v[22:23], v[12:13], v[18:19]
	s_nop 0
	v_addc_co_u32_e64 v9, s[0:1], 0, v43, s[0:1]
	v_fmac_f64_e32 v[22:23], v[14:15], v[16:17]
	global_load_dwordx4 v[16:19], v[8:9], off offset:1296
	ds_read_b128 v[12:15], v145 offset:8624
	ds_write_b128 v145, v[20:23]
	s_movk_i32 s0, 0x7000
	s_waitcnt vmcnt(0) lgkmcnt(1)
	v_mul_f64 v[20:21], v[14:15], v[18:19]
	v_mul_f64 v[22:23], v[12:13], v[18:19]
	v_fma_f64 v[20:21], v[12:13], v[16:17], -v[20:21]
	v_fmac_f64_e32 v[22:23], v[14:15], v[16:17]
	global_load_dwordx4 v[16:19], v[10:11], off offset:1232
	ds_read_b128 v[12:15], v145 offset:1232
	ds_write_b128 v145, v[20:23] offset:8624
	s_waitcnt vmcnt(0) lgkmcnt(1)
	v_mul_f64 v[20:21], v[14:15], v[18:19]
	v_mul_f64 v[22:23], v[12:13], v[18:19]
	v_fma_f64 v[20:21], v[12:13], v[16:17], -v[20:21]
	v_fmac_f64_e32 v[22:23], v[14:15], v[16:17]
	global_load_dwordx4 v[16:19], v[8:9], off offset:2528
	ds_read_b128 v[12:15], v145 offset:9856
	ds_write_b128 v145, v[20:23] offset:1232
	;; [unrolled: 8-line block ×5, first 2 shown]
	v_add_co_u32_e64 v22, s[0:1], s0, v42
	s_waitcnt vmcnt(0) lgkmcnt(1)
	v_mul_f64 v[10:11], v[14:15], v[18:19]
	v_fma_f64 v[10:11], v[12:13], v[16:17], -v[10:11]
	v_mul_f64 v[12:13], v[12:13], v[18:19]
	v_addc_co_u32_e64 v23, s[0:1], 0, v43, s[0:1]
	v_fmac_f64_e32 v[12:13], v[14:15], v[16:17]
	global_load_dwordx4 v[14:17], v[22:23], off offset:896
	ds_write_b128 v145, v[10:13] offset:3696
	ds_read_b128 v[10:13], v145 offset:12320
	s_movk_i32 s0, 0x5000
	v_add_co_u32_e64 v24, s[0:1], s0, v42
	s_waitcnt vmcnt(0) lgkmcnt(0)
	v_mul_f64 v[18:19], v[12:13], v[16:17]
	v_mul_f64 v[20:21], v[10:11], v[16:17]
	v_addc_co_u32_e64 v25, s[0:1], 0, v43, s[0:1]
	v_fma_f64 v[18:19], v[10:11], v[14:15], -v[18:19]
	v_fmac_f64_e32 v[20:21], v[12:13], v[14:15]
	global_load_dwordx4 v[14:17], v[24:25], off offset:1696
	ds_read_b128 v[10:13], v145 offset:4928
	ds_write_b128 v145, v[18:21] offset:12320
	s_mov_b32 s0, 0x8000
	s_waitcnt vmcnt(0) lgkmcnt(1)
	v_mul_f64 v[18:19], v[12:13], v[16:17]
	v_mul_f64 v[20:21], v[10:11], v[16:17]
	v_fma_f64 v[18:19], v[10:11], v[14:15], -v[18:19]
	v_fmac_f64_e32 v[20:21], v[12:13], v[14:15]
	global_load_dwordx4 v[14:17], v[22:23], off offset:2128
	ds_read_b128 v[10:13], v145 offset:13552
	ds_write_b128 v145, v[18:21] offset:4928
	s_waitcnt vmcnt(0) lgkmcnt(1)
	v_mul_f64 v[18:19], v[12:13], v[16:17]
	v_mul_f64 v[20:21], v[10:11], v[16:17]
	v_fma_f64 v[18:19], v[10:11], v[14:15], -v[18:19]
	v_fmac_f64_e32 v[20:21], v[12:13], v[14:15]
	global_load_dwordx4 v[14:17], v[24:25], off offset:2928
	ds_read_b128 v[10:13], v145 offset:6160
	ds_write_b128 v145, v[18:21] offset:13552
	s_waitcnt vmcnt(0) lgkmcnt(1)
	v_mul_f64 v[18:19], v[12:13], v[16:17]
	v_mul_f64 v[20:21], v[10:11], v[16:17]
	v_fma_f64 v[18:19], v[10:11], v[14:15], -v[18:19]
	v_fmac_f64_e32 v[20:21], v[12:13], v[14:15]
	global_load_dwordx4 v[14:17], v[22:23], off offset:3360
	ds_read_b128 v[10:13], v145 offset:14784
	ds_write_b128 v145, v[18:21] offset:6160
	s_waitcnt vmcnt(0) lgkmcnt(1)
	v_mul_f64 v[18:19], v[12:13], v[16:17]
	v_mul_f64 v[20:21], v[10:11], v[16:17]
	v_fma_f64 v[18:19], v[10:11], v[14:15], -v[18:19]
	v_fmac_f64_e32 v[20:21], v[12:13], v[14:15]
	global_load_dwordx4 v[14:17], v[8:9], off offset:64
	ds_read_b128 v[10:13], v145 offset:7392
	ds_write_b128 v145, v[18:21] offset:14784
	s_waitcnt vmcnt(0) lgkmcnt(1)
	v_mul_f64 v[8:9], v[12:13], v[16:17]
	v_fma_f64 v[8:9], v[10:11], v[14:15], -v[8:9]
	v_mul_f64 v[10:11], v[10:11], v[16:17]
	v_fmac_f64_e32 v[10:11], v[12:13], v[14:15]
	v_add_co_u32_e64 v12, s[0:1], s0, v42
	ds_write_b128 v145, v[8:11] offset:7392
	s_nop 0
	v_addc_co_u32_e64 v13, s[0:1], 0, v43, s[0:1]
	global_load_dwordx4 v[12:15], v[12:13], off offset:496
	ds_read_b128 v[8:11], v145 offset:16016
	s_waitcnt vmcnt(0) lgkmcnt(0)
	v_mul_f64 v[16:17], v[10:11], v[14:15]
	v_mul_f64 v[18:19], v[8:9], v[14:15]
	v_fma_f64 v[16:17], v[8:9], v[12:13], -v[16:17]
	v_fmac_f64_e32 v[18:19], v[10:11], v[12:13]
	ds_write_b128 v145, v[16:19] offset:16016
	s_waitcnt lgkmcnt(0)
	s_barrier
	ds_read_b128 v[8:11], v145
	ds_read_b128 v[12:15], v145 offset:8624
	ds_read_b128 v[16:19], v145 offset:1232
	;; [unrolled: 1-line block ×13, first 2 shown]
	s_waitcnt lgkmcnt(12)
	v_add_f64 v[74:75], v[8:9], -v[12:13]
	v_add_f64 v[76:77], v[10:11], -v[14:15]
	v_fma_f64 v[78:79], v[8:9], 2.0, -v[74:75]
	v_fma_f64 v[80:81], v[10:11], 2.0, -v[76:77]
	s_waitcnt lgkmcnt(10)
	v_add_f64 v[20:21], v[16:17], -v[20:21]
	v_add_f64 v[22:23], v[18:19], -v[22:23]
	s_waitcnt lgkmcnt(2)
	v_add_f64 v[8:9], v[48:49], -v[52:53]
	v_accvgpr_read_b32 v52, a59
	v_fma_f64 v[70:71], v[16:17], 2.0, -v[20:21]
	v_fma_f64 v[72:73], v[18:19], 2.0, -v[22:23]
	v_add_f64 v[28:29], v[24:25], -v[28:29]
	v_add_f64 v[30:31], v[26:27], -v[30:31]
	s_waitcnt lgkmcnt(0)
	s_barrier
	ds_write_b128 v52, v[78:81]
	ds_write_b128 v52, v[74:77] offset:16
	v_accvgpr_read_b32 v52, a96
	v_fma_f64 v[24:25], v[24:25], 2.0, -v[28:29]
	v_fma_f64 v[26:27], v[26:27], 2.0, -v[30:31]
	v_add_f64 v[36:37], v[32:33], -v[36:37]
	v_add_f64 v[38:39], v[34:35], -v[38:39]
	ds_write_b128 v52, v[70:73]
	ds_write_b128 v52, v[20:23] offset:16
	v_accvgpr_read_b32 v20, a105
	v_fma_f64 v[32:33], v[32:33], 2.0, -v[36:37]
	v_fma_f64 v[34:35], v[34:35], 2.0, -v[38:39]
	v_add_f64 v[44:45], v[40:41], -v[44:45]
	v_add_f64 v[46:47], v[42:43], -v[46:47]
	ds_write_b128 v20, v[24:27]
	ds_write_b128 v20, v[28:31] offset:16
	v_accvgpr_read_b32 v20, a104
	v_fma_f64 v[40:41], v[40:41], 2.0, -v[44:45]
	v_fma_f64 v[42:43], v[42:43], 2.0, -v[46:47]
	v_add_f64 v[10:11], v[50:51], -v[54:55]
	ds_write_b128 v20, v[32:35]
	ds_write_b128 v20, v[36:39] offset:16
	v_accvgpr_read_b32 v20, a103
	v_fma_f64 v[48:49], v[48:49], 2.0, -v[8:9]
	v_fma_f64 v[50:51], v[50:51], 2.0, -v[10:11]
	v_add_f64 v[16:17], v[56:57], -v[60:61]
	v_add_f64 v[18:19], v[58:59], -v[62:63]
	ds_write_b128 v20, v[40:43]
	ds_write_b128 v20, v[44:47] offset:16
	v_accvgpr_read_b32 v20, a102
	v_fma_f64 v[12:13], v[56:57], 2.0, -v[16:17]
	v_fma_f64 v[14:15], v[58:59], 2.0, -v[18:19]
	ds_write_b128 v20, v[48:51]
	ds_write_b128 v20, v[8:11] offset:16
	v_accvgpr_read_b32 v20, a97
	ds_write_b128 v20, v[12:15]
	ds_write_b128 v20, v[16:19] offset:16
	s_waitcnt lgkmcnt(0)
	s_barrier
	ds_read_b128 v[20:23], v145
	ds_read_b128 v[60:63], v145 offset:1568
	ds_read_b128 v[56:59], v145 offset:3136
	;; [unrolled: 1-line block ×10, first 2 shown]
	s_and_saveexec_b64 s[0:1], vcc
	s_cbranch_execz .LBB0_7
; %bb.6:
	ds_read_b128 v[8:11], v145 offset:1232
	ds_read_b128 v[12:15], v145 offset:2800
	ds_read_b128 v[16:19], v145 offset:4368
	ds_read_b128 v[64:67], v145 offset:5936
	ds_read_b128 v[152:155], v145 offset:7504
	ds_read_b128 v[192:195], v145 offset:9072
	ds_read_b128 v[208:211], v145 offset:10640
	ds_read_b128 v[172:175], v145 offset:12208
	ds_read_b128 v[148:151], v145 offset:13776
	ds_read_b128 v[140:143], v145 offset:15344
	ds_read_b128 v[136:139], v145 offset:16912
.LBB0_7:
	s_or_b64 exec, exec, s[0:1]
	s_waitcnt lgkmcnt(9)
	v_mul_f64 v[70:71], v[122:123], v[62:63]
	v_fmac_f64_e32 v[70:71], v[120:121], v[60:61]
	v_mul_f64 v[60:61], v[122:123], v[60:61]
	v_fma_f64 v[60:61], v[120:121], v[62:63], -v[60:61]
	s_waitcnt lgkmcnt(8)
	v_mul_f64 v[62:63], v[102:103], v[58:59]
	v_fmac_f64_e32 v[62:63], v[100:101], v[56:57]
	v_mul_f64 v[56:57], v[102:103], v[56:57]
	v_fma_f64 v[56:57], v[100:101], v[58:59], -v[56:57]
	;; [unrolled: 5-line block ×9, first 2 shown]
	s_waitcnt lgkmcnt(0)
	v_mul_f64 v[30:31], v[130:131], v[26:27]
	v_fmac_f64_e32 v[30:31], v[128:129], v[24:25]
	v_mul_f64 v[24:25], v[130:131], v[24:25]
	v_add_f64 v[72:73], v[22:23], v[60:61]
	v_fma_f64 v[24:25], v[128:129], v[26:27], -v[24:25]
	v_add_f64 v[26:27], v[20:21], v[70:71]
	v_add_f64 v[72:73], v[72:73], v[56:57]
	;; [unrolled: 1-line block ×16, first 2 shown]
	s_mov_b32 s8, 0xf8bb580b
	s_mov_b32 s12, 0x8eee2c13
	;; [unrolled: 1-line block ×5, first 2 shown]
	v_add_f64 v[26:27], v[26:27], v[34:35]
	v_add_f64 v[94:95], v[72:73], v[24:25]
	;; [unrolled: 1-line block ×3, first 2 shown]
	v_add_f64 v[24:25], v[60:61], -v[24:25]
	s_mov_b32 s9, 0xbfe14ced
	s_mov_b32 s0, 0x8764f0ba
	;; [unrolled: 1-line block ×10, first 2 shown]
	v_add_f64 v[92:93], v[26:27], v[30:31]
	v_add_f64 v[26:27], v[70:71], v[30:31]
	v_mul_f64 v[60:61], v[24:25], s[8:9]
	s_mov_b32 s1, 0x3feaeb8c
	v_mul_f64 v[78:79], v[24:25], s[12:13]
	s_mov_b32 s11, 0x3fda9628
	;; [unrolled: 2-line block ×5, first 2 shown]
	v_add_f64 v[30:31], v[70:71], -v[30:31]
	v_fma_f64 v[70:71], s[0:1], v[26:27], v[60:61]
	v_mul_f64 v[74:75], v[72:73], s[0:1]
	s_mov_b32 s25, 0x3fe14ced
	s_mov_b32 s24, s8
	v_fma_f64 v[60:61], v[26:27], s[0:1], -v[60:61]
	v_fma_f64 v[80:81], s[10:11], v[26:27], v[78:79]
	v_mul_f64 v[86:87], v[72:73], s[10:11]
	s_mov_b32 s31, 0x3fed1bb4
	s_mov_b32 s30, s12
	v_fma_f64 v[78:79], v[26:27], s[10:11], -v[78:79]
	;; [unrolled: 5-line block ×5, first 2 shown]
	v_add_f64 v[26:27], v[56:57], v[28:29]
	v_add_f64 v[28:29], v[56:57], -v[28:29]
	v_add_f64 v[70:71], v[20:21], v[70:71]
	v_fma_f64 v[76:77], s[24:25], v[30:31], v[74:75]
	v_add_f64 v[60:61], v[20:21], v[60:61]
	v_fmac_f64_e32 v[74:75], s[8:9], v[30:31]
	v_add_f64 v[80:81], v[20:21], v[80:81]
	v_fma_f64 v[88:89], s[30:31], v[30:31], v[86:87]
	v_add_f64 v[78:79], v[20:21], v[78:79]
	v_fmac_f64_e32 v[86:87], s[12:13], v[30:31]
	;; [unrolled: 4-line block ×5, first 2 shown]
	v_add_f64 v[24:25], v[62:63], v[34:35]
	v_add_f64 v[30:31], v[62:63], -v[34:35]
	v_mul_f64 v[34:35], v[28:29], s[12:13]
	v_fma_f64 v[56:57], s[10:11], v[24:25], v[34:35]
	v_mul_f64 v[62:63], v[26:27], s[10:11]
	v_add_f64 v[74:75], v[22:23], v[74:75]
	v_add_f64 v[56:57], v[56:57], v[70:71]
	v_fma_f64 v[70:71], s[30:31], v[30:31], v[62:63]
	v_fma_f64 v[34:35], v[24:25], s[10:11], -v[34:35]
	v_fmac_f64_e32 v[62:63], s[12:13], v[30:31]
	v_add_f64 v[34:35], v[34:35], v[60:61]
	v_add_f64 v[60:61], v[62:63], v[74:75]
	v_mul_f64 v[62:63], v[28:29], s[20:21]
	v_add_f64 v[76:77], v[22:23], v[76:77]
	v_add_f64 v[88:89], v[22:23], v[88:89]
	;; [unrolled: 1-line block ×9, first 2 shown]
	v_fma_f64 v[72:73], s[18:19], v[24:25], v[62:63]
	v_mul_f64 v[74:75], v[26:27], s[18:19]
	v_fma_f64 v[62:63], v[24:25], s[18:19], -v[62:63]
	v_add_f64 v[70:71], v[70:71], v[76:77]
	v_fma_f64 v[76:77], s[36:37], v[30:31], v[74:75]
	v_add_f64 v[62:63], v[62:63], v[78:79]
	v_fmac_f64_e32 v[74:75], s[20:21], v[30:31]
	v_mul_f64 v[78:79], v[28:29], s[34:35]
	v_add_f64 v[72:73], v[72:73], v[80:81]
	v_add_f64 v[74:75], v[74:75], v[86:87]
	v_fma_f64 v[80:81], s[22:23], v[24:25], v[78:79]
	v_mul_f64 v[86:87], v[26:27], s[22:23]
	v_fma_f64 v[78:79], v[24:25], s[22:23], -v[78:79]
	v_add_f64 v[76:77], v[76:77], v[88:89]
	v_fma_f64 v[88:89], s[26:27], v[30:31], v[86:87]
	v_add_f64 v[78:79], v[78:79], v[90:91]
	v_fmac_f64_e32 v[86:87], s[34:35], v[30:31]
	v_mul_f64 v[90:91], v[28:29], s[28:29]
	v_add_f64 v[80:81], v[80:81], v[96:97]
	v_add_f64 v[86:87], v[86:87], v[98:99]
	v_fma_f64 v[96:97], s[14:15], v[24:25], v[90:91]
	v_mul_f64 v[98:99], v[26:27], s[14:15]
	v_fma_f64 v[90:91], v[24:25], s[14:15], -v[90:91]
	v_mul_f64 v[28:29], v[28:29], s[24:25]
	v_mul_f64 v[26:27], v[26:27], s[0:1]
	v_add_f64 v[88:89], v[88:89], v[100:101]
	v_add_f64 v[96:97], v[96:97], v[104:105]
	v_fma_f64 v[100:101], s[16:17], v[30:31], v[98:99]
	v_add_f64 v[90:91], v[90:91], v[102:103]
	v_fmac_f64_e32 v[98:99], s[28:29], v[30:31]
	v_fma_f64 v[102:103], s[0:1], v[24:25], v[28:29]
	v_fma_f64 v[104:105], s[8:9], v[30:31], v[26:27]
	v_fma_f64 v[24:25], v[24:25], s[0:1], -v[28:29]
	v_fmac_f64_e32 v[26:27], s[24:25], v[30:31]
	v_add_f64 v[30:31], v[54:55], -v[32:33]
	v_add_f64 v[20:21], v[24:25], v[20:21]
	v_add_f64 v[22:23], v[26:27], v[22:23]
	;; [unrolled: 1-line block ×4, first 2 shown]
	v_mul_f64 v[32:33], v[30:31], s[16:17]
	v_add_f64 v[28:29], v[58:59], -v[38:39]
	v_fma_f64 v[38:39], s[14:15], v[24:25], v[32:33]
	v_mul_f64 v[54:55], v[26:27], s[14:15]
	v_add_f64 v[38:39], v[38:39], v[56:57]
	v_fma_f64 v[56:57], s[28:29], v[28:29], v[54:55]
	v_fma_f64 v[32:33], v[24:25], s[14:15], -v[32:33]
	v_fmac_f64_e32 v[54:55], s[16:17], v[28:29]
	v_add_f64 v[32:33], v[32:33], v[34:35]
	v_add_f64 v[34:35], v[54:55], v[60:61]
	v_mul_f64 v[54:55], v[30:31], s[34:35]
	v_fma_f64 v[58:59], s[22:23], v[24:25], v[54:55]
	v_mul_f64 v[60:61], v[26:27], s[22:23]
	v_fma_f64 v[54:55], v[24:25], s[22:23], -v[54:55]
	v_add_f64 v[56:57], v[56:57], v[70:71]
	v_fma_f64 v[70:71], s[26:27], v[28:29], v[60:61]
	v_add_f64 v[54:55], v[54:55], v[62:63]
	v_fmac_f64_e32 v[60:61], s[34:35], v[28:29]
	v_mul_f64 v[62:63], v[30:31], s[30:31]
	v_add_f64 v[58:59], v[58:59], v[72:73]
	v_add_f64 v[60:61], v[60:61], v[74:75]
	v_fma_f64 v[72:73], s[10:11], v[24:25], v[62:63]
	v_mul_f64 v[74:75], v[26:27], s[10:11]
	v_fma_f64 v[62:63], v[24:25], s[10:11], -v[62:63]
	v_add_f64 v[70:71], v[70:71], v[76:77]
	v_fma_f64 v[76:77], s[12:13], v[28:29], v[74:75]
	v_add_f64 v[62:63], v[62:63], v[78:79]
	v_fmac_f64_e32 v[74:75], s[30:31], v[28:29]
	v_mul_f64 v[78:79], v[30:31], s[8:9]
	v_add_f64 v[72:73], v[72:73], v[80:81]
	v_add_f64 v[74:75], v[74:75], v[86:87]
	v_fma_f64 v[80:81], s[0:1], v[24:25], v[78:79]
	v_mul_f64 v[86:87], v[26:27], s[0:1]
	v_fma_f64 v[78:79], v[24:25], s[0:1], -v[78:79]
	v_mul_f64 v[30:31], v[30:31], s[20:21]
	v_mul_f64 v[26:27], v[26:27], s[18:19]
	v_add_f64 v[80:81], v[80:81], v[96:97]
	v_add_f64 v[78:79], v[78:79], v[90:91]
	v_fma_f64 v[90:91], s[18:19], v[24:25], v[30:31]
	v_fma_f64 v[96:97], s[36:37], v[28:29], v[26:27]
	v_fma_f64 v[24:25], v[24:25], s[18:19], -v[30:31]
	v_fmac_f64_e32 v[26:27], s[20:21], v[28:29]
	v_add_f64 v[30:31], v[50:51], -v[36:37]
	v_add_f64 v[20:21], v[24:25], v[20:21]
	v_add_f64 v[22:23], v[26:27], v[22:23]
	;; [unrolled: 1-line block ×4, first 2 shown]
	v_mul_f64 v[36:37], v[30:31], s[20:21]
	v_add_f64 v[76:77], v[76:77], v[88:89]
	v_fma_f64 v[88:89], s[24:25], v[28:29], v[86:87]
	v_fmac_f64_e32 v[86:87], s[8:9], v[28:29]
	v_add_f64 v[28:29], v[52:53], -v[42:43]
	v_fma_f64 v[42:43], s[18:19], v[24:25], v[36:37]
	v_add_f64 v[38:39], v[42:43], v[38:39]
	v_mul_f64 v[42:43], v[26:27], s[18:19]
	v_fma_f64 v[36:37], v[24:25], s[18:19], -v[36:37]
	v_fma_f64 v[50:51], s[36:37], v[28:29], v[42:43]
	v_add_f64 v[32:33], v[36:37], v[32:33]
	v_fmac_f64_e32 v[42:43], s[20:21], v[28:29]
	v_mul_f64 v[36:37], v[30:31], s[28:29]
	v_add_f64 v[34:35], v[42:43], v[34:35]
	v_fma_f64 v[42:43], s[14:15], v[24:25], v[36:37]
	v_mul_f64 v[52:53], v[26:27], s[14:15]
	v_fma_f64 v[36:37], v[24:25], s[14:15], -v[36:37]
	v_add_f64 v[50:51], v[50:51], v[56:57]
	v_fma_f64 v[56:57], s[16:17], v[28:29], v[52:53]
	v_add_f64 v[36:37], v[36:37], v[54:55]
	v_fmac_f64_e32 v[52:53], s[28:29], v[28:29]
	v_mul_f64 v[54:55], v[30:31], s[8:9]
	v_add_f64 v[42:43], v[42:43], v[58:59]
	v_add_f64 v[52:53], v[52:53], v[60:61]
	v_fma_f64 v[58:59], s[0:1], v[24:25], v[54:55]
	v_mul_f64 v[60:61], v[26:27], s[0:1]
	v_fma_f64 v[54:55], v[24:25], s[0:1], -v[54:55]
	v_add_f64 v[56:57], v[56:57], v[70:71]
	v_fma_f64 v[70:71], s[24:25], v[28:29], v[60:61]
	v_add_f64 v[54:55], v[54:55], v[62:63]
	v_fmac_f64_e32 v[60:61], s[8:9], v[28:29]
	v_mul_f64 v[62:63], v[30:31], s[26:27]
	v_add_f64 v[100:101], v[100:101], v[108:109]
	v_add_f64 v[98:99], v[98:99], v[106:107]
	;; [unrolled: 1-line block ×6, first 2 shown]
	v_fma_f64 v[72:73], s[22:23], v[24:25], v[62:63]
	v_mul_f64 v[74:75], v[26:27], s[22:23]
	v_fma_f64 v[62:63], v[24:25], s[22:23], -v[62:63]
	v_mul_f64 v[30:31], v[30:31], s[30:31]
	v_mul_f64 v[26:27], v[26:27], s[10:11]
	v_add_f64 v[88:89], v[88:89], v[100:101]
	v_add_f64 v[86:87], v[86:87], v[98:99]
	;; [unrolled: 1-line block ×6, first 2 shown]
	v_fma_f64 v[76:77], s[34:35], v[28:29], v[74:75]
	v_add_f64 v[62:63], v[62:63], v[78:79]
	v_fmac_f64_e32 v[74:75], s[26:27], v[28:29]
	v_fma_f64 v[78:79], s[10:11], v[24:25], v[30:31]
	v_fma_f64 v[80:81], s[12:13], v[28:29], v[26:27]
	v_fma_f64 v[24:25], v[24:25], s[10:11], -v[30:31]
	v_add_f64 v[100:101], v[44:45], -v[40:41]
	v_add_f64 v[74:75], v[74:75], v[86:87]
	v_add_f64 v[78:79], v[78:79], v[90:91]
	;; [unrolled: 1-line block ×4, first 2 shown]
	v_fmac_f64_e32 v[26:27], s[30:31], v[28:29]
	v_add_f64 v[90:91], v[48:49], v[46:47]
	v_add_f64 v[96:97], v[44:45], v[40:41]
	v_mul_f64 v[24:25], v[100:101], s[26:27]
	v_add_f64 v[76:77], v[76:77], v[88:89]
	v_add_f64 v[88:89], v[26:27], v[22:23]
	v_add_f64 v[98:99], v[48:49], -v[46:47]
	v_fma_f64 v[20:21], s[22:23], v[90:91], v[24:25]
	v_mul_f64 v[26:27], v[96:97], s[22:23]
	v_fma_f64 v[24:25], v[90:91], s[22:23], -v[24:25]
	v_fma_f64 v[22:23], s[34:35], v[98:99], v[26:27]
	v_add_f64 v[24:25], v[24:25], v[32:33]
	v_fmac_f64_e32 v[26:27], s[26:27], v[98:99]
	v_mul_f64 v[32:33], v[100:101], s[24:25]
	v_add_f64 v[26:27], v[26:27], v[34:35]
	v_fma_f64 v[28:29], s[0:1], v[90:91], v[32:33]
	v_mul_f64 v[34:35], v[96:97], s[0:1]
	v_fma_f64 v[32:33], v[90:91], s[0:1], -v[32:33]
	v_mul_f64 v[40:41], v[100:101], s[20:21]
	v_fma_f64 v[30:31], s[8:9], v[98:99], v[34:35]
	v_add_f64 v[32:33], v[32:33], v[36:37]
	v_fma_f64 v[36:37], s[18:19], v[90:91], v[40:41]
	v_add_f64 v[22:23], v[22:23], v[50:51]
	v_add_f64 v[28:29], v[28:29], v[42:43]
	;; [unrolled: 1-line block ×3, first 2 shown]
	v_fmac_f64_e32 v[34:35], s[24:25], v[98:99]
	v_add_f64 v[36:37], v[36:37], v[58:59]
	v_mul_f64 v[42:43], v[96:97], s[18:19]
	v_fma_f64 v[40:41], v[90:91], s[18:19], -v[40:41]
	v_mul_f64 v[48:49], v[100:101], s[30:31]
	v_mul_f64 v[50:51], v[96:97], s[10:11]
	;; [unrolled: 1-line block ×4, first 2 shown]
	v_add_u32_e32 v115, 0x4d0, v145
	v_add_f64 v[20:21], v[20:21], v[38:39]
	v_add_f64 v[34:35], v[34:35], v[52:53]
	v_fma_f64 v[38:39], s[36:37], v[98:99], v[42:43]
	v_add_f64 v[40:41], v[40:41], v[54:55]
	v_fmac_f64_e32 v[42:43], s[20:21], v[98:99]
	v_fma_f64 v[44:45], s[10:11], v[90:91], v[48:49]
	v_fma_f64 v[46:47], s[12:13], v[98:99], v[50:51]
	v_fma_f64 v[48:49], v[90:91], s[10:11], -v[48:49]
	v_fmac_f64_e32 v[50:51], s[30:31], v[98:99]
	v_fma_f64 v[52:53], s[14:15], v[90:91], v[56:57]
	v_fma_f64 v[54:55], s[28:29], v[98:99], v[58:59]
	v_fma_f64 v[56:57], v[90:91], s[14:15], -v[56:57]
	v_fmac_f64_e32 v[58:59], s[16:17], v[98:99]
	v_add_f64 v[38:39], v[38:39], v[70:71]
	v_add_f64 v[42:43], v[42:43], v[60:61]
	;; [unrolled: 1-line block ×10, first 2 shown]
	s_barrier
	ds_write_b128 v68, v[92:95]
	ds_write_b128 v68, v[20:23] offset:32
	ds_write_b128 v68, v[28:31] offset:64
	;; [unrolled: 1-line block ×10, first 2 shown]
	s_and_saveexec_b64 s[36:37], vcc
	s_cbranch_execz .LBB0_9
; %bb.8:
	v_accvgpr_read_b32 v32, a92
	v_accvgpr_read_b32 v34, a94
	;; [unrolled: 1-line block ×8, first 2 shown]
	v_mul_f64 v[22:23], v[34:35], v[192:193]
	v_accvgpr_read_b32 v42, a74
	v_accvgpr_read_b32 v43, a75
	;; [unrolled: 1-line block ×3, first 2 shown]
	v_mul_f64 v[30:31], v[26:27], v[210:211]
	v_fma_f64 v[36:37], v[32:33], v[194:195], -v[22:23]
	v_mul_f64 v[22:23], v[26:27], v[208:209]
	v_accvgpr_read_b32 v41, a73
	v_accvgpr_read_b32 v50, a82
	v_accvgpr_read_b32 v51, a83
	v_mul_f64 v[26:27], v[42:43], v[152:153]
	v_mul_f64 v[28:29], v[34:35], v[194:195]
	;; [unrolled: 1-line block ×3, first 2 shown]
	v_fma_f64 v[46:47], v[40:41], v[154:155], -v[26:27]
	v_mul_f64 v[26:27], v[50:51], v[172:173]
	v_accvgpr_read_b32 v50, a68
	v_accvgpr_read_b32 v49, a81
	;; [unrolled: 1-line block ×5, first 2 shown]
	v_fmac_f64_e32 v[28:29], v[32:33], v[192:193]
	v_mul_f64 v[32:33], v[42:43], v[154:155]
	v_fmac_f64_e32 v[34:35], v[48:49], v[172:173]
	v_fma_f64 v[44:45], v[48:49], v[174:175], -v[26:27]
	v_accvgpr_read_b32 v51, a69
	v_accvgpr_read_b32 v62, a78
	;; [unrolled: 1-line block ×3, first 2 shown]
	v_mul_f64 v[48:49], v[52:53], v[64:65]
	v_fmac_f64_e32 v[32:33], v[40:41], v[152:153]
	v_accvgpr_read_b32 v61, a77
	v_mul_f64 v[40:41], v[62:63], v[150:151]
	v_fma_f64 v[54:55], v[50:51], v[66:67], -v[48:49]
	v_mul_f64 v[48:49], v[62:63], v[148:149]
	v_mul_f64 v[42:43], v[52:53], v[66:67]
	v_fmac_f64_e32 v[40:41], v[60:61], v[148:149]
	v_fma_f64 v[52:53], v[60:61], v[150:151], -v[48:49]
	v_accvgpr_read_b32 v60, a60
	v_accvgpr_read_b32 v62, a62
	v_accvgpr_read_b32 v63, a63
	v_fmac_f64_e32 v[42:43], v[50:51], v[64:65]
	v_accvgpr_read_b32 v61, a61
	v_mul_f64 v[50:51], v[62:63], v[18:19]
	v_accvgpr_read_b32 v88, a98
	v_fmac_f64_e32 v[50:51], v[60:61], v[16:17]
	v_accvgpr_read_b32 v90, a100
	v_accvgpr_read_b32 v91, a101
	v_mul_f64 v[16:17], v[62:63], v[16:17]
	v_accvgpr_read_b32 v89, a99
	v_mul_f64 v[48:49], v[90:91], v[142:143]
	v_fma_f64 v[64:65], v[60:61], v[18:19], -v[16:17]
	v_mul_f64 v[16:17], v[90:91], v[140:141]
	v_fmac_f64_e32 v[48:49], v[88:89], v[140:141]
	v_fma_f64 v[62:63], v[88:89], v[142:143], -v[16:17]
	v_accvgpr_read_b32 v91, a67
	v_accvgpr_read_b32 v90, a66
	;; [unrolled: 1-line block ×5, first 2 shown]
	v_mul_f64 v[60:61], v[90:91], v[14:15]
	v_accvgpr_read_b32 v100, a90
	v_fmac_f64_e32 v[60:61], v[88:89], v[12:13]
	v_accvgpr_read_b32 v99, a89
	v_accvgpr_read_b32 v98, a88
	v_mul_f64 v[56:57], v[100:101], v[138:139]
	v_mul_f64 v[12:13], v[90:91], v[12:13]
	v_fmac_f64_e32 v[56:57], v[98:99], v[136:137]
	v_fma_f64 v[70:71], v[88:89], v[14:15], -v[12:13]
	v_mul_f64 v[12:13], v[100:101], v[136:137]
	v_add_f64 v[96:97], v[60:61], -v[56:57]
	v_fma_f64 v[66:67], v[98:99], v[138:139], -v[12:13]
	v_add_f64 v[94:95], v[50:51], -v[48:49]
	v_mul_f64 v[18:19], v[96:97], s[26:27]
	v_add_f64 v[78:79], v[70:71], v[66:67]
	v_accvgpr_read_b32 v25, a85
	v_add_f64 v[76:77], v[42:43], -v[40:41]
	v_mul_f64 v[106:107], v[94:95], s[24:25]
	v_add_f64 v[74:75], v[64:65], v[62:63]
	v_fma_f64 v[12:13], s[22:23], v[78:79], v[18:19]
	v_fmac_f64_e32 v[30:31], v[24:25], v[208:209]
	v_add_f64 v[80:81], v[32:33], -v[34:35]
	v_mul_f64 v[104:105], v[76:77], s[20:21]
	v_add_f64 v[72:73], v[54:55], v[52:53]
	v_fma_f64 v[16:17], s[0:1], v[74:75], v[106:107]
	v_add_f64 v[12:13], v[10:11], v[12:13]
	v_add_f64 v[126:127], v[70:71], -v[66:67]
	v_add_f64 v[92:93], v[28:29], -v[30:31]
	v_fma_f64 v[38:39], v[24:25], v[210:211], -v[22:23]
	v_mul_f64 v[24:25], v[80:81], s[30:31]
	v_add_f64 v[68:69], v[46:47], v[44:45]
	v_fma_f64 v[86:87], s[18:19], v[72:73], v[104:105]
	v_add_f64 v[12:13], v[16:17], v[12:13]
	v_add_f64 v[124:125], v[64:65], -v[62:63]
	v_add_f64 v[90:91], v[60:61], v[56:57]
	v_mul_f64 v[120:121], v[126:127], s[26:27]
	v_mul_f64 v[20:21], v[92:93], s[16:17]
	v_add_f64 v[58:59], v[36:37], v[38:39]
	v_fma_f64 v[26:27], s[10:11], v[68:69], v[24:25]
	v_add_f64 v[12:13], v[86:87], v[12:13]
	v_add_f64 v[102:103], v[54:55], -v[52:53]
	v_add_f64 v[88:89], v[50:51], v[48:49]
	v_mul_f64 v[116:117], v[124:125], s[24:25]
	v_fma_f64 v[122:123], v[90:91], s[22:23], -v[120:121]
	v_fma_f64 v[22:23], s[14:15], v[58:59], v[20:21]
	v_add_f64 v[12:13], v[26:27], v[12:13]
	v_add_f64 v[100:101], v[46:47], -v[44:45]
	v_add_f64 v[86:87], v[42:43], v[40:41]
	v_mul_f64 v[108:109], v[102:103], s[20:21]
	v_fma_f64 v[118:119], v[88:89], s[0:1], -v[116:117]
	v_add_f64 v[122:123], v[8:9], v[122:123]
	v_add_f64 v[14:15], v[22:23], v[12:13]
	v_add_f64 v[98:99], v[36:37], -v[38:39]
	v_mov_b32_e32 v155, v84
	v_add_f64 v[84:85], v[32:33], v[34:35]
	v_mul_f64 v[22:23], v[100:101], s[30:31]
	v_fma_f64 v[110:111], v[86:87], s[18:19], -v[108:109]
	v_add_f64 v[118:119], v[118:119], v[122:123]
	v_mov_b32_e32 v154, v83
	v_add_f64 v[82:83], v[28:29], v[30:31]
	v_mul_f64 v[16:17], v[98:99], s[16:17]
	v_fma_f64 v[26:27], v[84:85], s[10:11], -v[22:23]
	v_add_f64 v[110:111], v[110:111], v[118:119]
	v_fma_f64 v[12:13], v[82:83], s[14:15], -v[16:17]
	v_add_f64 v[26:27], v[26:27], v[110:111]
	;; [unrolled: 2-line block ×3, first 2 shown]
	v_fma_f64 v[26:27], v[72:73], s[18:19], -v[104:105]
	v_fma_f64 v[104:105], v[74:75], s[0:1], -v[106:107]
	v_add_f64 v[18:19], v[10:11], v[18:19]
	v_add_f64 v[18:19], v[104:105], v[18:19]
	v_fma_f64 v[24:25], v[68:69], s[10:11], -v[24:25]
	v_add_f64 v[18:19], v[26:27], v[18:19]
	v_fma_f64 v[20:21], v[58:59], s[14:15], -v[20:21]
	v_add_f64 v[18:19], v[24:25], v[18:19]
	v_fmac_f64_e32 v[120:121], s[22:23], v[90:91]
	v_add_f64 v[18:19], v[20:21], v[18:19]
	v_fmac_f64_e32 v[116:117], s[0:1], v[88:89]
	;; [unrolled: 2-line block ×3, first 2 shown]
	v_add_f64 v[20:21], v[116:117], v[20:21]
	v_mul_f64 v[116:117], v[96:97], s[20:21]
	v_add_f64 v[20:21], v[108:109], v[20:21]
	v_mul_f64 v[108:109], v[94:95], s[28:29]
	v_fma_f64 v[118:119], s[18:19], v[78:79], v[116:117]
	v_fma_f64 v[116:117], v[78:79], s[18:19], -v[116:117]
	v_mul_f64 v[104:105], v[76:77], s[8:9]
	v_fma_f64 v[110:111], s[14:15], v[74:75], v[108:109]
	v_fma_f64 v[108:109], v[74:75], s[14:15], -v[108:109]
	v_add_f64 v[116:117], v[10:11], v[116:117]
	v_fmac_f64_e32 v[22:23], s[10:11], v[84:85]
	v_mul_f64 v[26:27], v[80:81], s[26:27]
	v_fma_f64 v[106:107], s[0:1], v[72:73], v[104:105]
	v_fma_f64 v[104:105], v[72:73], s[0:1], -v[104:105]
	v_add_f64 v[108:109], v[108:109], v[116:117]
	v_fmac_f64_e32 v[16:17], s[14:15], v[82:83]
	v_add_f64 v[20:21], v[22:23], v[20:21]
	v_mul_f64 v[24:25], v[92:93], s[30:31]
	v_fma_f64 v[22:23], s[22:23], v[68:69], v[26:27]
	v_mul_f64 v[132:133], v[126:127], s[20:21]
	v_fma_f64 v[26:27], v[68:69], s[22:23], -v[26:27]
	v_add_f64 v[104:105], v[104:105], v[108:109]
	v_add_f64 v[16:17], v[16:17], v[20:21]
	v_fma_f64 v[20:21], s[10:11], v[58:59], v[24:25]
	v_add_f64 v[118:119], v[10:11], v[118:119]
	v_mul_f64 v[128:129], v[124:125], s[28:29]
	v_fma_f64 v[134:135], v[90:91], s[18:19], -v[132:133]
	v_fma_f64 v[24:25], v[58:59], s[10:11], -v[24:25]
	v_add_f64 v[26:27], v[26:27], v[104:105]
	v_fmac_f64_e32 v[132:133], s[18:19], v[90:91]
	v_add_f64 v[110:111], v[110:111], v[118:119]
	v_mul_f64 v[120:121], v[102:103], s[8:9]
	v_fma_f64 v[130:131], v[88:89], s[14:15], -v[128:129]
	v_add_f64 v[134:135], v[8:9], v[134:135]
	v_add_f64 v[26:27], v[24:25], v[26:27]
	v_fmac_f64_e32 v[128:129], s[14:15], v[88:89]
	v_add_f64 v[24:25], v[8:9], v[132:133]
	v_add_f64 v[106:107], v[106:107], v[110:111]
	v_mul_f64 v[110:111], v[100:101], s[26:27]
	v_fma_f64 v[122:123], v[86:87], s[0:1], -v[120:121]
	v_add_f64 v[130:131], v[130:131], v[134:135]
	v_fmac_f64_e32 v[120:121], s[0:1], v[86:87]
	v_add_f64 v[24:25], v[128:129], v[24:25]
	v_mul_f64 v[128:129], v[96:97], s[16:17]
	v_add_f64 v[22:23], v[22:23], v[106:107]
	v_mul_f64 v[106:107], v[98:99], s[30:31]
	v_fma_f64 v[118:119], v[84:85], s[22:23], -v[110:111]
	v_add_f64 v[122:123], v[122:123], v[130:131]
	v_add_f64 v[24:25], v[120:121], v[24:25]
	v_mul_f64 v[120:121], v[94:95], s[34:35]
	v_fma_f64 v[130:131], s[14:15], v[78:79], v[128:129]
	v_fma_f64 v[128:129], v[78:79], s[14:15], -v[128:129]
	v_add_f64 v[22:23], v[20:21], v[22:23]
	v_fma_f64 v[20:21], v[82:83], s[10:11], -v[106:107]
	v_add_f64 v[118:119], v[118:119], v[122:123]
	v_fmac_f64_e32 v[110:111], s[22:23], v[84:85]
	v_mul_f64 v[116:117], v[76:77], s[30:31]
	v_fma_f64 v[122:123], s[22:23], v[74:75], v[120:121]
	v_fma_f64 v[120:121], v[74:75], s[22:23], -v[120:121]
	v_add_f64 v[128:129], v[10:11], v[128:129]
	v_add_f64 v[20:21], v[20:21], v[118:119]
	v_fmac_f64_e32 v[106:107], s[10:11], v[82:83]
	v_add_f64 v[24:25], v[110:111], v[24:25]
	v_mul_f64 v[110:111], v[80:81], s[8:9]
	v_fma_f64 v[118:119], s[10:11], v[72:73], v[116:117]
	v_fma_f64 v[116:117], v[72:73], s[10:11], -v[116:117]
	v_add_f64 v[120:121], v[120:121], v[128:129]
	v_add_f64 v[24:25], v[106:107], v[24:25]
	v_mul_f64 v[108:109], v[92:93], s[20:21]
	v_fma_f64 v[106:107], s[0:1], v[68:69], v[110:111]
	v_mul_f64 v[140:141], v[126:127], s[16:17]
	v_fma_f64 v[110:111], v[68:69], s[0:1], -v[110:111]
	v_add_f64 v[116:117], v[116:117], v[120:121]
	v_fma_f64 v[104:105], s[18:19], v[58:59], v[108:109]
	v_add_f64 v[130:131], v[10:11], v[130:131]
	v_mul_f64 v[136:137], v[124:125], s[34:35]
	v_fma_f64 v[142:143], v[90:91], s[14:15], -v[140:141]
	v_fma_f64 v[108:109], v[58:59], s[18:19], -v[108:109]
	v_add_f64 v[110:111], v[110:111], v[116:117]
	v_fmac_f64_e32 v[140:141], s[14:15], v[90:91]
	v_add_f64 v[122:123], v[122:123], v[130:131]
	v_mul_f64 v[132:133], v[102:103], s[30:31]
	v_fma_f64 v[138:139], v[88:89], s[22:23], -v[136:137]
	v_add_f64 v[142:143], v[8:9], v[142:143]
	v_add_f64 v[110:111], v[108:109], v[110:111]
	v_fmac_f64_e32 v[136:137], s[22:23], v[88:89]
	v_add_f64 v[108:109], v[8:9], v[140:141]
	v_add_f64 v[118:119], v[118:119], v[122:123]
	v_mul_f64 v[122:123], v[100:101], s[8:9]
	v_fma_f64 v[134:135], v[86:87], s[10:11], -v[132:133]
	v_add_f64 v[138:139], v[138:139], v[142:143]
	v_fmac_f64_e32 v[132:133], s[10:11], v[86:87]
	v_add_f64 v[108:109], v[136:137], v[108:109]
	v_mul_f64 v[136:137], v[96:97], s[12:13]
	v_add_f64 v[106:107], v[106:107], v[118:119]
	v_mul_f64 v[118:119], v[98:99], s[20:21]
	v_fma_f64 v[130:131], v[84:85], s[0:1], -v[122:123]
	v_add_f64 v[134:135], v[134:135], v[138:139]
	v_add_f64 v[108:109], v[132:133], v[108:109]
	v_mul_f64 v[132:133], v[94:95], s[20:21]
	v_fma_f64 v[138:139], s[10:11], v[78:79], v[136:137]
	v_fma_f64 v[136:137], v[78:79], s[10:11], -v[136:137]
	v_add_f64 v[106:107], v[104:105], v[106:107]
	v_fma_f64 v[104:105], v[82:83], s[18:19], -v[118:119]
	v_add_f64 v[130:131], v[130:131], v[134:135]
	v_fmac_f64_e32 v[122:123], s[0:1], v[84:85]
	v_mul_f64 v[128:129], v[76:77], s[34:35]
	v_fma_f64 v[134:135], s[18:19], v[74:75], v[132:133]
	v_fma_f64 v[132:133], v[74:75], s[18:19], -v[132:133]
	v_add_f64 v[136:137], v[10:11], v[136:137]
	v_add_f64 v[104:105], v[104:105], v[130:131]
	v_fmac_f64_e32 v[118:119], s[18:19], v[82:83]
	v_add_f64 v[108:109], v[122:123], v[108:109]
	v_mul_f64 v[122:123], v[80:81], s[28:29]
	v_fma_f64 v[130:131], s[22:23], v[72:73], v[128:129]
	v_fma_f64 v[128:129], v[72:73], s[22:23], -v[128:129]
	v_add_f64 v[132:133], v[132:133], v[136:137]
	v_add_f64 v[108:109], v[118:119], v[108:109]
	v_mul_f64 v[120:121], v[92:93], s[24:25]
	v_fma_f64 v[118:119], s[14:15], v[68:69], v[122:123]
	v_mul_f64 v[150:151], v[126:127], s[12:13]
	v_fma_f64 v[122:123], v[68:69], s[14:15], -v[122:123]
	v_add_f64 v[128:129], v[128:129], v[132:133]
	v_fma_f64 v[116:117], s[0:1], v[58:59], v[120:121]
	v_add_f64 v[138:139], v[10:11], v[138:139]
	v_mul_f64 v[146:147], v[124:125], s[20:21]
	v_fma_f64 v[152:153], v[90:91], s[10:11], -v[150:151]
	v_fma_f64 v[120:121], v[58:59], s[0:1], -v[120:121]
	v_add_f64 v[122:123], v[122:123], v[128:129]
	v_fmac_f64_e32 v[150:151], s[10:11], v[90:91]
	v_add_f64 v[134:135], v[134:135], v[138:139]
	v_mul_f64 v[140:141], v[102:103], s[34:35]
	v_fma_f64 v[148:149], v[88:89], s[18:19], -v[146:147]
	v_add_f64 v[122:123], v[120:121], v[122:123]
	v_fmac_f64_e32 v[146:147], s[18:19], v[88:89]
	v_add_f64 v[120:121], v[8:9], v[150:151]
	v_add_f64 v[130:131], v[130:131], v[134:135]
	v_mul_f64 v[134:135], v[100:101], s[28:29]
	v_fma_f64 v[142:143], v[86:87], s[22:23], -v[140:141]
	v_fmac_f64_e32 v[140:141], s[22:23], v[86:87]
	v_add_f64 v[120:121], v[146:147], v[120:121]
	v_fma_f64 v[138:139], v[84:85], s[14:15], -v[134:135]
	v_fmac_f64_e32 v[134:135], s[14:15], v[84:85]
	v_add_f64 v[120:121], v[140:141], v[120:121]
	v_mul_f64 v[76:77], v[76:77], s[16:17]
	v_mul_f64 v[96:97], v[96:97], s[8:9]
	v_add_f64 v[152:153], v[8:9], v[152:153]
	v_add_f64 v[120:121], v[134:135], v[120:121]
	v_fma_f64 v[132:133], s[14:15], v[72:73], v[76:77]
	v_mul_f64 v[134:135], v[94:95], s[12:13]
	v_fma_f64 v[72:73], v[72:73], s[14:15], -v[76:77]
	v_fma_f64 v[76:77], v[78:79], s[0:1], -v[96:97]
	v_add_f64 v[118:119], v[118:119], v[130:131]
	v_mul_f64 v[130:131], v[98:99], s[24:25]
	v_add_f64 v[148:149], v[148:149], v[152:153]
	v_fma_f64 v[94:95], s[10:11], v[74:75], v[134:135]
	v_fma_f64 v[74:75], v[74:75], s[10:11], -v[134:135]
	v_add_f64 v[76:77], v[10:11], v[76:77]
	v_add_f64 v[118:119], v[116:117], v[118:119]
	v_fma_f64 v[116:117], v[82:83], s[0:1], -v[130:131]
	v_add_f64 v[142:143], v[142:143], v[148:149]
	v_fmac_f64_e32 v[130:131], s[0:1], v[82:83]
	v_mul_f64 v[80:81], v[80:81], s[20:21]
	v_add_f64 v[74:75], v[74:75], v[76:77]
	v_add_f64 v[138:139], v[138:139], v[142:143]
	v_add_f64 v[120:121], v[130:131], v[120:121]
	v_mul_f64 v[128:129], v[92:93], s[26:27]
	v_fma_f64 v[130:131], s[18:19], v[68:69], v[80:81]
	v_mul_f64 v[126:127], v[126:127], s[8:9]
	v_fma_f64 v[68:69], v[68:69], s[18:19], -v[80:81]
	v_add_f64 v[72:73], v[72:73], v[74:75]
	v_add_f64 v[116:117], v[116:117], v[138:139]
	v_fma_f64 v[92:93], s[22:23], v[58:59], v[128:129]
	v_fma_f64 v[136:137], s[0:1], v[78:79], v[96:97]
	v_fma_f64 v[138:139], v[90:91], s[0:1], -v[126:127]
	v_fma_f64 v[58:59], v[58:59], s[22:23], -v[128:129]
	v_add_f64 v[68:69], v[68:69], v[72:73]
	v_fmac_f64_e32 v[126:127], s[0:1], v[90:91]
	v_add_f64 v[136:137], v[10:11], v[136:137]
	v_add_f64 v[138:139], v[8:9], v[138:139]
	;; [unrolled: 1-line block ×14, first 2 shown]
	v_mul_f64 v[124:125], v[124:125], s[12:13]
	v_add_f64 v[10:11], v[10:11], v[38:39]
	v_add_f64 v[8:9], v[8:9], v[30:31]
	;; [unrolled: 1-line block ×3, first 2 shown]
	v_mul_f64 v[102:103], v[102:103], s[16:17]
	v_fma_f64 v[136:137], v[88:89], s[10:11], -v[124:125]
	v_fmac_f64_e32 v[124:125], s[10:11], v[88:89]
	v_add_f64 v[10:11], v[10:11], v[44:45]
	v_add_f64 v[8:9], v[8:9], v[34:35]
	;; [unrolled: 1-line block ×3, first 2 shown]
	v_mul_f64 v[100:101], v[100:101], s[20:21]
	v_fma_f64 v[132:133], v[86:87], s[14:15], -v[102:103]
	v_add_f64 v[136:137], v[136:137], v[138:139]
	v_fmac_f64_e32 v[102:103], s[14:15], v[86:87]
	v_add_f64 v[58:59], v[124:125], v[58:59]
	v_add_f64 v[10:11], v[10:11], v[52:53]
	;; [unrolled: 1-line block ×3, first 2 shown]
	v_mul_u32_u24_e32 v28, 22, v155
	v_accvgpr_read_b32 v29, a58
	v_add_f64 v[94:95], v[130:131], v[94:95]
	v_mul_f64 v[98:99], v[98:99], s[26:27]
	v_fma_f64 v[130:131], v[84:85], s[18:19], -v[100:101]
	v_add_f64 v[132:133], v[132:133], v[136:137]
	v_fmac_f64_e32 v[100:101], s[18:19], v[84:85]
	v_add_f64 v[58:59], v[102:103], v[58:59]
	v_add_f64 v[10:11], v[10:11], v[62:63]
	;; [unrolled: 1-line block ×3, first 2 shown]
	v_or_b32_e32 v28, v28, v29
	v_add_f64 v[94:95], v[92:93], v[94:95]
	v_fma_f64 v[92:93], v[82:83], s[22:23], -v[98:99]
	v_add_f64 v[130:131], v[130:131], v[132:133]
	v_fmac_f64_e32 v[98:99], s[22:23], v[82:83]
	v_add_f64 v[58:59], v[100:101], v[58:59]
	v_add_f64 v[10:11], v[10:11], v[66:67]
	;; [unrolled: 1-line block ×3, first 2 shown]
	v_lshl_add_u32 v28, v28, 4, v154
	v_add_f64 v[92:93], v[92:93], v[130:131]
	v_add_f64 v[72:73], v[98:99], v[58:59]
	ds_write_b128 v28, v[8:11]
	ds_write_b128 v28, v[72:75] offset:32
	ds_write_b128 v28, v[120:123] offset:64
	;; [unrolled: 1-line block ×10, first 2 shown]
.LBB0_9:
	s_or_b64 exec, exec, s[36:37]
	s_waitcnt lgkmcnt(0)
	s_barrier
	ds_read_b128 v[12:15], v145
	ds_read_b128 v[8:11], v145 offset:1232
	ds_read_b128 v[22:25], v145 offset:2464
	;; [unrolled: 1-line block ×13, first 2 shown]
	s_waitcnt lgkmcnt(11)
	v_mul_f64 v[70:71], v[170:171], v[24:25]
	v_fmac_f64_e32 v[70:71], v[168:169], v[22:23]
	v_mul_f64 v[22:23], v[170:171], v[22:23]
	v_fma_f64 v[22:23], v[168:169], v[24:25], -v[22:23]
	s_waitcnt lgkmcnt(9)
	v_mul_f64 v[24:25], v[166:167], v[32:33]
	v_fmac_f64_e32 v[24:25], v[164:165], v[30:31]
	v_mul_f64 v[30:31], v[166:167], v[30:31]
	v_fma_f64 v[30:31], v[164:165], v[32:33], -v[30:31]
	;; [unrolled: 5-line block ×6, first 2 shown]
	v_mul_f64 v[64:65], v[206:207], v[28:29]
	v_fmac_f64_e32 v[64:65], v[204:205], v[26:27]
	v_mul_f64 v[26:27], v[206:207], v[26:27]
	v_fma_f64 v[72:73], v[204:205], v[28:29], -v[26:27]
	v_mul_f64 v[26:27], v[198:199], v[34:35]
	v_fma_f64 v[76:77], v[196:197], v[36:37], -v[26:27]
	;; [unrolled: 2-line block ×3, first 2 shown]
	v_mul_f64 v[82:83], v[186:187], v[52:53]
	v_mul_f64 v[26:27], v[186:187], v[50:51]
	v_fmac_f64_e32 v[82:83], v[184:185], v[50:51]
	v_fma_f64 v[50:51], v[184:185], v[52:53], -v[26:27]
	v_mul_f64 v[52:53], v[214:215], v[60:61]
	v_mul_f64 v[26:27], v[214:215], v[58:59]
	v_fmac_f64_e32 v[52:53], v[212:213], v[58:59]
	v_fma_f64 v[58:59], v[212:213], v[60:61], -v[26:27]
	s_waitcnt lgkmcnt(0)
	v_mul_f64 v[60:61], v[202:203], v[68:69]
	v_mul_f64 v[26:27], v[202:203], v[66:67]
	;; [unrolled: 1-line block ×4, first 2 shown]
	v_fmac_f64_e32 v[60:61], v[200:201], v[66:67]
	v_fma_f64 v[66:67], v[200:201], v[68:69], -v[26:27]
	v_add_f64 v[26:27], v[70:71], v[56:57]
	v_add_f64 v[36:37], v[24:25], v[48:49]
	v_fmac_f64_e32 v[78:79], v[188:189], v[42:43]
	v_add_f64 v[28:29], v[22:23], v[62:63]
	v_add_f64 v[42:43], v[30:31], v[54:55]
	;; [unrolled: 1-line block ×3, first 2 shown]
	v_add_f64 v[32:33], v[40:41], -v[32:33]
	v_add_f64 v[40:41], v[36:37], v[26:27]
	v_mad_u64_u32 v[18:19], s[0:1], s6, v144, 0
	v_add_f64 v[24:25], v[24:25], -v[48:49]
	v_add_f64 v[48:49], v[38:39], v[46:47]
	v_add_f64 v[38:39], v[46:47], -v[38:39]
	v_add_f64 v[46:47], v[42:43], v[28:29]
	v_add_f64 v[40:41], v[44:45], v[40:41]
	v_mov_b32_e32 v16, s2
	v_mov_b32_e32 v17, s3
	v_add_f64 v[30:31], v[30:31], -v[54:55]
	v_add_f64 v[54:55], v[36:37], -v[26:27]
	;; [unrolled: 1-line block ×4, first 2 shown]
	v_add_f64 v[44:45], v[48:49], v[46:47]
	v_add_f64 v[12:13], v[12:13], v[40:41]
	s_mov_b32 s2, 0x37e14327
	s_mov_b32 s0, 0x36b3c0b5
	;; [unrolled: 1-line block ×4, first 2 shown]
	v_fmac_f64_e32 v[74:75], v[196:197], v[34:35]
	v_add_f64 v[34:35], v[70:71], -v[56:57]
	v_add_f64 v[22:23], v[22:23], -v[62:63]
	;; [unrolled: 1-line block ×5, first 2 shown]
	v_add_f64 v[62:63], v[32:33], v[24:25]
	v_add_f64 v[68:69], v[38:39], v[30:31]
	v_add_f64 v[70:71], v[32:33], -v[24:25]
	v_add_f64 v[84:85], v[38:39], -v[30:31]
	v_add_f64 v[14:15], v[14:15], v[44:45]
	s_mov_b32 s3, 0x3fe948f6
	s_mov_b32 s1, 0x3fac98ee
	;; [unrolled: 1-line block ×5, first 2 shown]
	v_mov_b64_e32 v[86:87], v[12:13]
	s_mov_b32 s14, 0x5476071b
	v_add_f64 v[32:33], v[34:35], -v[32:33]
	v_add_f64 v[38:39], v[22:23], -v[38:39]
	;; [unrolled: 1-line block ×4, first 2 shown]
	v_add_f64 v[34:35], v[62:63], v[34:35]
	v_add_f64 v[22:23], v[68:69], v[22:23]
	v_mul_f64 v[26:27], v[26:27], s[2:3]
	v_mul_f64 v[28:29], v[28:29], s[2:3]
	;; [unrolled: 1-line block ×6, first 2 shown]
	s_mov_b32 s9, 0xbfebfeb5
	v_fmac_f64_e32 v[86:87], s[12:13], v[40:41]
	v_mov_b64_e32 v[40:41], v[14:15]
	s_mov_b32 s15, 0x3fe77f67
	s_mov_b32 s17, 0xbfe77f67
	;; [unrolled: 1-line block ×5, first 2 shown]
	v_mul_f64 v[70:71], v[24:25], s[8:9]
	v_mul_f64 v[84:85], v[30:31], s[8:9]
	v_fmac_f64_e32 v[40:41], s[12:13], v[44:45]
	v_fma_f64 v[44:45], v[54:55], s[14:15], -v[46:47]
	v_fma_f64 v[46:47], v[56:57], s[14:15], -v[48:49]
	;; [unrolled: 1-line block ×3, first 2 shown]
	v_fmac_f64_e32 v[26:27], s[0:1], v[36:37]
	v_fma_f64 v[36:37], v[56:57], s[16:17], -v[28:29]
	v_fmac_f64_e32 v[28:29], s[0:1], v[42:43]
	s_mov_b32 s19, 0xbfd5d0dc
	v_fma_f64 v[42:43], v[24:25], s[8:9], -v[62:63]
	v_fma_f64 v[54:55], v[30:31], s[8:9], -v[68:69]
	s_mov_b32 s23, 0x3fd5d0dc
	s_mov_b32 s22, s18
	s_mov_b32 s21, 0xbfdc38aa
	v_fmac_f64_e32 v[62:63], s[18:19], v[32:33]
	v_fmac_f64_e32 v[68:69], s[18:19], v[38:39]
	v_fma_f64 v[56:57], v[32:33], s[22:23], -v[70:71]
	v_fma_f64 v[38:39], v[38:39], s[22:23], -v[84:85]
	v_add_f64 v[44:45], v[44:45], v[86:87]
	v_add_f64 v[46:47], v[46:47], v[40:41]
	v_fmac_f64_e32 v[42:43], s[20:21], v[34:35]
	v_fmac_f64_e32 v[54:55], s[20:21], v[22:23]
	v_add_f64 v[70:71], v[26:27], v[86:87]
	v_add_f64 v[84:85], v[28:29], v[40:41]
	;; [unrolled: 1-line block ×4, first 2 shown]
	v_fmac_f64_e32 v[62:63], s[20:21], v[34:35]
	v_fmac_f64_e32 v[68:69], s[20:21], v[22:23]
	;; [unrolled: 1-line block ×4, first 2 shown]
	v_add_f64 v[30:31], v[44:45], -v[54:55]
	v_add_f64 v[32:33], v[42:43], v[46:47]
	v_add_f64 v[34:35], v[54:55], v[44:45]
	v_add_f64 v[36:37], v[46:47], -v[42:43]
	v_add_f64 v[46:47], v[64:65], v[60:61]
	v_add_f64 v[54:55], v[64:65], -v[60:61]
	v_add_f64 v[60:61], v[74:75], v[52:53]
	v_add_f64 v[22:23], v[68:69], v[70:71]
	v_add_f64 v[24:25], v[84:85], -v[62:63]
	v_add_f64 v[26:27], v[38:39], v[48:49]
	v_add_f64 v[38:39], v[48:49], -v[38:39]
	v_add_f64 v[42:43], v[70:71], -v[68:69]
	v_add_f64 v[44:45], v[62:63], v[84:85]
	v_add_f64 v[48:49], v[72:73], v[66:67]
	;; [unrolled: 1-line block ×5, first 2 shown]
	v_add_f64 v[28:29], v[40:41], -v[56:57]
	v_add_f64 v[40:41], v[56:57], v[40:41]
	v_add_f64 v[56:57], v[72:73], -v[66:67]
	v_add_f64 v[52:53], v[74:75], -v[52:53]
	v_add_f64 v[66:67], v[80:81], v[50:51]
	v_add_f64 v[72:73], v[62:63], v[48:49]
	v_add_f64 v[74:75], v[60:61], -v[46:47]
	v_add_f64 v[46:47], v[46:47], -v[64:65]
	v_add_f64 v[60:61], v[64:65], -v[60:61]
	v_add_f64 v[64:65], v[64:65], v[70:71]
	v_add_f64 v[58:59], v[76:77], -v[58:59]
	v_add_f64 v[68:69], v[82:83], -v[78:79]
	;; [unrolled: 1-line block ×6, first 2 shown]
	v_add_f64 v[66:67], v[66:67], v[72:73]
	v_add_f64 v[8:9], v[8:9], v[64:65]
	;; [unrolled: 1-line block ×4, first 2 shown]
	v_add_f64 v[82:83], v[68:69], -v[52:53]
	v_add_f64 v[84:85], v[50:51], -v[58:59]
	;; [unrolled: 1-line block ×4, first 2 shown]
	v_add_f64 v[10:11], v[10:11], v[66:67]
	v_mov_b64_e32 v[86:87], v[8:9]
	v_add_f64 v[68:69], v[54:55], -v[68:69]
	v_add_f64 v[50:51], v[56:57], -v[50:51]
	v_add_f64 v[54:55], v[78:79], v[54:55]
	v_add_f64 v[56:57], v[80:81], v[56:57]
	v_mul_f64 v[46:47], v[46:47], s[2:3]
	v_mul_f64 v[48:49], v[48:49], s[2:3]
	;; [unrolled: 1-line block ×8, first 2 shown]
	v_fmac_f64_e32 v[86:87], s[12:13], v[64:65]
	v_mov_b64_e32 v[64:65], v[10:11]
	v_fmac_f64_e32 v[64:65], s[12:13], v[66:67]
	v_fma_f64 v[66:67], v[74:75], s[14:15], -v[70:71]
	v_fma_f64 v[70:71], v[76:77], s[14:15], -v[72:73]
	;; [unrolled: 1-line block ×3, first 2 shown]
	v_fmac_f64_e32 v[46:47], s[0:1], v[60:61]
	v_fma_f64 v[60:61], v[76:77], s[16:17], -v[48:49]
	v_fmac_f64_e32 v[48:49], s[0:1], v[62:63]
	v_fma_f64 v[62:63], v[52:53], s[8:9], -v[78:79]
	;; [unrolled: 2-line block ×4, first 2 shown]
	v_fma_f64 v[74:75], v[50:51], s[22:23], -v[84:85]
	v_add_f64 v[76:77], v[46:47], v[86:87]
	v_add_f64 v[82:83], v[48:49], v[64:65]
	;; [unrolled: 1-line block ×6, first 2 shown]
	v_fmac_f64_e32 v[78:79], s[20:21], v[54:55]
	v_fmac_f64_e32 v[80:81], s[20:21], v[56:57]
	v_fmac_f64_e32 v[62:63], s[20:21], v[54:55]
	v_fmac_f64_e32 v[58:59], s[20:21], v[56:57]
	v_fmac_f64_e32 v[68:69], s[20:21], v[54:55]
	v_fmac_f64_e32 v[74:75], s[20:21], v[56:57]
	v_add_f64 v[46:47], v[80:81], v[76:77]
	v_add_f64 v[48:49], v[82:83], -v[78:79]
	v_add_f64 v[50:51], v[74:75], v[72:73]
	v_add_f64 v[52:53], v[64:65], -v[68:69]
	v_add_f64 v[54:55], v[66:67], -v[58:59]
	v_add_f64 v[56:57], v[62:63], v[70:71]
	v_add_f64 v[58:59], v[58:59], v[66:67]
	v_add_f64 v[60:61], v[70:71], -v[62:63]
	v_add_f64 v[62:63], v[72:73], -v[74:75]
	v_add_f64 v[64:65], v[68:69], v[64:65]
	v_add_f64 v[66:67], v[76:77], -v[80:81]
	v_add_f64 v[68:69], v[78:79], v[82:83]
	s_barrier
	ds_write_b128 v112, v[12:15]
	ds_write_b128 v112, v[22:25] offset:352
	ds_write_b128 v112, v[26:29] offset:704
	;; [unrolled: 1-line block ×6, first 2 shown]
	ds_write_b128 v113, v[8:11]
	ds_write_b128 v113, v[46:49] offset:352
	ds_write_b128 v113, v[50:53] offset:704
	;; [unrolled: 1-line block ×6, first 2 shown]
	s_waitcnt lgkmcnt(0)
	s_barrier
	ds_read_b128 v[12:15], v145
	ds_read_b128 v[8:11], v145 offset:1232
	ds_read_b128 v[22:25], v145 offset:2464
	;; [unrolled: 1-line block ×13, first 2 shown]
	s_waitcnt lgkmcnt(11)
	v_mul_f64 v[70:71], v[234:235], v[24:25]
	v_fmac_f64_e32 v[70:71], v[232:233], v[22:23]
	v_mul_f64 v[22:23], v[234:235], v[22:23]
	v_fma_f64 v[22:23], v[232:233], v[24:25], -v[22:23]
	s_waitcnt lgkmcnt(9)
	v_mul_f64 v[24:25], v[226:227], v[32:33]
	v_fmac_f64_e32 v[24:25], v[224:225], v[30:31]
	v_mul_f64 v[30:31], v[226:227], v[30:31]
	v_fma_f64 v[30:31], v[224:225], v[32:33], -v[30:31]
	;; [unrolled: 5-line block ×6, first 2 shown]
	v_mul_f64 v[64:65], v[2:3], v[28:29]
	v_mul_f64 v[2:3], v[2:3], v[26:27]
	v_fmac_f64_e32 v[64:65], v[0:1], v[26:27]
	v_fma_f64 v[72:73], v[0:1], v[28:29], -v[2:3]
	v_mul_f64 v[0:1], v[250:251], v[34:35]
	v_fma_f64 v[76:77], v[248:249], v[36:37], -v[0:1]
	v_mul_f64 v[78:79], v[246:247], v[44:45]
	v_mul_f64 v[0:1], v[246:247], v[42:43]
	v_fmac_f64_e32 v[78:79], v[244:245], v[42:43]
	v_fma_f64 v[42:43], v[244:245], v[44:45], -v[0:1]
	v_mul_f64 v[44:45], v[242:243], v[52:53]
	v_mul_f64 v[0:1], v[242:243], v[50:51]
	v_fmac_f64_e32 v[44:45], v[240:241], v[50:51]
	;; [unrolled: 4-line block ×3, first 2 shown]
	v_fma_f64 v[58:59], v[4:5], v[60:61], -v[0:1]
	s_waitcnt lgkmcnt(0)
	v_mul_f64 v[60:61], v[254:255], v[68:69]
	v_mul_f64 v[0:1], v[254:255], v[66:67]
	;; [unrolled: 1-line block ×3, first 2 shown]
	v_fmac_f64_e32 v[60:61], v[252:253], v[66:67]
	v_fma_f64 v[66:67], v[252:253], v[68:69], -v[0:1]
	v_add_f64 v[0:1], v[70:71], v[56:57]
	v_add_f64 v[2:3], v[22:23], v[62:63]
	v_add_f64 v[6:7], v[22:23], -v[62:63]
	v_add_f64 v[22:23], v[24:25], v[48:49]
	v_fmac_f64_e32 v[74:75], v[248:249], v[34:35]
	v_add_f64 v[26:27], v[30:31], v[54:55]
	v_add_f64 v[24:25], v[24:25], -v[48:49]
	v_add_f64 v[28:29], v[30:31], -v[54:55]
	v_add_f64 v[30:31], v[32:33], v[40:41]
	v_add_f64 v[34:35], v[38:39], v[46:47]
	v_add_f64 v[32:33], v[40:41], -v[32:33]
	v_add_f64 v[36:37], v[46:47], -v[38:39]
	v_add_f64 v[38:39], v[22:23], v[0:1]
	v_add_f64 v[4:5], v[70:71], -v[56:57]
	v_add_f64 v[40:41], v[26:27], v[2:3]
	v_add_f64 v[46:47], v[22:23], -v[0:1]
	v_add_f64 v[54:55], v[0:1], -v[30:31]
	;; [unrolled: 1-line block ×3, first 2 shown]
	v_add_f64 v[0:1], v[32:33], v[24:25]
	v_add_f64 v[30:31], v[30:31], v[38:39]
	v_add_f64 v[48:49], v[26:27], -v[2:3]
	v_add_f64 v[56:57], v[2:3], -v[34:35]
	;; [unrolled: 1-line block ×3, first 2 shown]
	v_add_f64 v[2:3], v[36:37], v[28:29]
	v_add_f64 v[62:63], v[32:33], -v[24:25]
	v_add_f64 v[32:33], v[4:5], -v[32:33]
	;; [unrolled: 1-line block ×3, first 2 shown]
	v_add_f64 v[34:35], v[34:35], v[40:41]
	v_add_f64 v[4:5], v[0:1], v[4:5]
	;; [unrolled: 1-line block ×3, first 2 shown]
	v_add_f64 v[68:69], v[36:37], -v[28:29]
	v_add_f64 v[36:37], v[6:7], -v[36:37]
	;; [unrolled: 1-line block ×3, first 2 shown]
	v_add_f64 v[6:7], v[2:3], v[6:7]
	v_add_f64 v[2:3], v[14:15], v[34:35]
	v_mov_b64_e32 v[70:71], v[0:1]
	v_mul_f64 v[12:13], v[54:55], s[2:3]
	v_mul_f64 v[14:15], v[56:57], s[2:3]
	;; [unrolled: 1-line block ×7, first 2 shown]
	v_fmac_f64_e32 v[70:71], s[12:13], v[30:31]
	v_mov_b64_e32 v[30:31], v[2:3]
	v_mul_f64 v[62:63], v[24:25], s[8:9]
	v_fmac_f64_e32 v[30:31], s[12:13], v[34:35]
	v_fma_f64 v[34:35], v[46:47], s[14:15], -v[38:39]
	v_fma_f64 v[38:39], v[48:49], s[14:15], -v[40:41]
	;; [unrolled: 1-line block ×3, first 2 shown]
	v_fmac_f64_e32 v[12:13], s[0:1], v[22:23]
	v_fma_f64 v[22:23], v[48:49], s[16:17], -v[14:15]
	v_fmac_f64_e32 v[14:15], s[0:1], v[26:27]
	v_fma_f64 v[46:47], v[24:25], s[8:9], -v[54:55]
	;; [unrolled: 2-line block ×4, first 2 shown]
	v_fma_f64 v[32:33], v[32:33], s[22:23], -v[62:63]
	v_add_f64 v[62:63], v[14:15], v[30:31]
	v_add_f64 v[28:29], v[34:35], v[70:71]
	;; [unrolled: 1-line block ×4, first 2 shown]
	v_fmac_f64_e32 v[54:55], s[20:21], v[4:5]
	v_fmac_f64_e32 v[36:37], s[20:21], v[6:7]
	v_add_f64 v[48:49], v[12:13], v[70:71]
	v_add_f64 v[40:41], v[22:23], v[30:31]
	v_fmac_f64_e32 v[56:57], s[20:21], v[6:7]
	v_fmac_f64_e32 v[46:47], s[20:21], v[4:5]
	;; [unrolled: 1-line block ×4, first 2 shown]
	v_add_f64 v[6:7], v[62:63], -v[54:55]
	v_add_f64 v[12:13], v[36:37], v[38:39]
	v_add_f64 v[30:31], v[38:39], -v[36:37]
	v_add_f64 v[36:37], v[54:55], v[62:63]
	v_add_f64 v[38:39], v[64:65], v[60:61]
	;; [unrolled: 1-line block ×4, first 2 shown]
	v_add_f64 v[14:15], v[40:41], -v[32:33]
	v_add_f64 v[22:23], v[28:29], -v[26:27]
	v_add_f64 v[24:25], v[46:47], v[34:35]
	v_add_f64 v[26:27], v[26:27], v[28:29]
	v_add_f64 v[28:29], v[34:35], -v[46:47]
	v_add_f64 v[32:33], v[32:33], v[40:41]
	v_add_f64 v[34:35], v[48:49], -v[56:57]
	v_add_f64 v[40:41], v[72:73], v[66:67]
	v_add_f64 v[46:47], v[64:65], -v[60:61]
	v_add_f64 v[56:57], v[76:77], v[58:59]
	v_add_f64 v[60:61], v[78:79], v[44:45]
	;; [unrolled: 1-line block ×3, first 2 shown]
	v_add_f64 v[42:43], v[50:51], -v[42:43]
	v_add_f64 v[50:51], v[54:55], v[38:39]
	v_add_f64 v[64:65], v[56:57], v[40:41]
	;; [unrolled: 1-line block ×3, first 2 shown]
	v_add_f64 v[48:49], v[72:73], -v[66:67]
	v_add_f64 v[52:53], v[74:75], -v[52:53]
	;; [unrolled: 1-line block ×7, first 2 shown]
	v_add_f64 v[60:61], v[62:63], v[64:65]
	v_add_f64 v[8:9], v[8:9], v[50:51]
	v_add_f64 v[68:69], v[56:57], -v[40:41]
	v_add_f64 v[40:41], v[40:41], -v[62:63]
	;; [unrolled: 1-line block ×3, first 2 shown]
	v_add_f64 v[70:71], v[44:45], v[52:53]
	v_add_f64 v[72:73], v[42:43], v[58:59]
	v_add_f64 v[74:75], v[44:45], -v[52:53]
	v_add_f64 v[76:77], v[42:43], -v[58:59]
	;; [unrolled: 1-line block ×4, first 2 shown]
	v_add_f64 v[10:11], v[10:11], v[60:61]
	v_mov_b64_e32 v[78:79], v[8:9]
	v_add_f64 v[44:45], v[46:47], -v[44:45]
	v_add_f64 v[42:43], v[48:49], -v[42:43]
	v_add_f64 v[46:47], v[70:71], v[46:47]
	v_add_f64 v[48:49], v[72:73], v[48:49]
	v_mul_f64 v[38:39], v[38:39], s[2:3]
	v_mul_f64 v[40:41], v[40:41], s[2:3]
	;; [unrolled: 1-line block ×8, first 2 shown]
	v_fmac_f64_e32 v[78:79], s[12:13], v[50:51]
	v_mov_b64_e32 v[50:51], v[10:11]
	v_fmac_f64_e32 v[50:51], s[12:13], v[60:61]
	v_fma_f64 v[54:55], s[0:1], v[54:55], v[38:39]
	v_fma_f64 v[60:61], v[66:67], s[14:15], -v[62:63]
	v_fma_f64 v[62:63], v[68:69], s[14:15], -v[64:65]
	;; [unrolled: 1-line block ×4, first 2 shown]
	v_fmac_f64_e32 v[40:41], s[0:1], v[56:57]
	v_fma_f64 v[66:67], s[18:19], v[44:45], v[70:71]
	v_fma_f64 v[52:53], v[52:53], s[8:9], -v[70:71]
	v_fma_f64 v[56:57], v[58:59], s[8:9], -v[72:73]
	v_fmac_f64_e32 v[72:73], s[18:19], v[42:43]
	v_fma_f64 v[58:59], v[44:45], s[22:23], -v[74:75]
	v_fma_f64 v[68:69], v[42:43], s[22:23], -v[76:77]
	v_add_f64 v[70:71], v[54:55], v[78:79]
	v_add_f64 v[74:75], v[40:41], v[50:51]
	;; [unrolled: 1-line block ×6, first 2 shown]
	v_fmac_f64_e32 v[66:67], s[20:21], v[46:47]
	v_fmac_f64_e32 v[72:73], s[20:21], v[48:49]
	;; [unrolled: 1-line block ×6, first 2 shown]
	v_add_f64 v[38:39], v[72:73], v[70:71]
	v_add_f64 v[40:41], v[74:75], -v[66:67]
	v_add_f64 v[42:43], v[68:69], v[62:63]
	v_add_f64 v[44:45], v[64:65], -v[58:59]
	v_add_f64 v[46:47], v[54:55], -v[56:57]
	v_add_f64 v[48:49], v[52:53], v[60:61]
	v_add_f64 v[50:51], v[56:57], v[54:55]
	v_add_f64 v[52:53], v[60:61], -v[52:53]
	v_add_f64 v[54:55], v[62:63], -v[68:69]
	v_add_f64 v[56:57], v[58:59], v[64:65]
	v_add_f64 v[58:59], v[70:71], -v[72:73]
	v_add_f64 v[60:61], v[66:67], v[74:75]
	ds_write_b128 v145, v[0:3]
	ds_write_b128 v145, v[4:7] offset:2464
	ds_write_b128 v145, v[12:15] offset:4928
	;; [unrolled: 1-line block ×13, first 2 shown]
	s_waitcnt lgkmcnt(0)
	s_barrier
	ds_read_b128 v[4:7], v145
	v_mov_b32_e32 v20, v19
	v_accvgpr_read_b32 v10, a50
	v_mad_u64_u32 v[0:1], s[0:1], s7, v144, v[20:21]
	v_accvgpr_read_b32 v12, a52
	v_accvgpr_read_b32 v13, a53
	v_mov_b32_e32 v19, v0
	ds_read_b128 v[0:3], v145 offset:1232
	v_accvgpr_read_b32 v11, a51
	s_waitcnt lgkmcnt(1)
	v_mul_f64 v[8:9], v[12:13], v[6:7]
	v_fmac_f64_e32 v[8:9], v[10:11], v[4:5]
	v_mul_f64 v[4:5], v[12:13], v[4:5]
	s_mov_b32 s0, 0xdbe74d6b
	v_fma_f64 v[4:5], v[10:11], v[6:7], -v[4:5]
	v_accvgpr_read_b32 v6, a28
	s_mov_b32 s1, 0x3f4e65a3
	v_mad_u64_u32 v[12:13], s[2:3], s4, v6, 0
	v_mul_f64 v[10:11], v[4:5], s[0:1]
	v_mov_b32_e32 v4, v13
	v_mad_u64_u32 v[4:5], s[2:3], s5, v6, v[4:5]
	v_mov_b32_e32 v13, v4
	ds_read_b128 v[4:7], v145 offset:8624
	v_lshl_add_u64 v[14:15], v[18:19], 4, v[16:17]
	v_accvgpr_read_b32 v21, a11
	v_mul_f64 v[8:9], v[8:9], s[0:1]
	v_lshl_add_u64 v[16:17], v[12:13], 4, v[14:15]
	v_accvgpr_read_b32 v20, a10
	global_store_dwordx4 v[16:17], v[8:11], off
	ds_read_b128 v[8:11], v145 offset:7392
	v_accvgpr_read_b32 v19, a9
	v_accvgpr_read_b32 v18, a8
	s_waitcnt lgkmcnt(1)
	v_mul_f64 v[12:13], v[20:21], v[6:7]
	v_fmac_f64_e32 v[12:13], v[18:19], v[4:5]
	v_mul_f64 v[4:5], v[20:21], v[4:5]
	v_mov_b32_e32 v22, 0x21b0
	v_fma_f64 v[4:5], v[18:19], v[6:7], -v[4:5]
	v_mad_u64_u32 v[16:17], s[2:3], s4, v22, v[16:17]
	s_mul_i32 s6, s5, 0x21b0
	v_mul_f64 v[12:13], v[12:13], s[0:1]
	v_mul_f64 v[14:15], v[4:5], s[0:1]
	v_add_u32_e32 v17, s6, v17
	global_store_dwordx4 v[16:17], v[12:15], off
	v_mov_b32_e32 v23, 0xffffe320
	v_mad_u64_u32 v[16:17], s[2:3], s4, v23, v[16:17]
	v_accvgpr_read_b32 v15, a3
	v_accvgpr_read_b32 v14, a2
	;; [unrolled: 1-line block ×4, first 2 shown]
	v_mul_f64 v[4:5], v[14:15], v[2:3]
	v_fmac_f64_e32 v[4:5], v[12:13], v[0:1]
	v_mul_f64 v[0:1], v[14:15], v[0:1]
	v_fma_f64 v[0:1], v[12:13], v[2:3], -v[0:1]
	v_mul_f64 v[6:7], v[0:1], s[0:1]
	ds_read_b128 v[0:3], v145 offset:9856
	s_mul_i32 s2, s5, 0xffffe320
	s_sub_i32 s5, s2, s4
	v_accvgpr_read_b32 v21, a7
	v_mul_f64 v[4:5], v[4:5], s[0:1]
	v_add_u32_e32 v17, s5, v17
	v_accvgpr_read_b32 v20, a6
	global_store_dwordx4 v[16:17], v[4:7], off
	ds_read_b128 v[4:7], v145 offset:11088
	v_accvgpr_read_b32 v19, a5
	v_accvgpr_read_b32 v18, a4
	s_waitcnt lgkmcnt(1)
	v_mul_f64 v[12:13], v[20:21], v[2:3]
	v_fmac_f64_e32 v[12:13], v[18:19], v[0:1]
	v_mul_f64 v[0:1], v[20:21], v[0:1]
	v_fma_f64 v[0:1], v[18:19], v[2:3], -v[0:1]
	v_mul_f64 v[14:15], v[0:1], s[0:1]
	ds_read_b128 v[0:3], v145 offset:2464
	v_mad_u64_u32 v[20:21], s[2:3], s4, v22, v[16:17]
	v_accvgpr_read_b32 v27, a23
	v_mul_f64 v[12:13], v[12:13], s[0:1]
	v_add_u32_e32 v21, s6, v21
	v_accvgpr_read_b32 v26, a22
	global_store_dwordx4 v[20:21], v[12:15], off
	ds_read_b128 v[12:15], v145 offset:3696
	v_accvgpr_read_b32 v25, a21
	v_accvgpr_read_b32 v24, a20
	s_waitcnt lgkmcnt(1)
	v_mul_f64 v[16:17], v[26:27], v[2:3]
	v_fmac_f64_e32 v[16:17], v[24:25], v[0:1]
	v_mul_f64 v[0:1], v[26:27], v[0:1]
	v_fma_f64 v[0:1], v[24:25], v[2:3], -v[0:1]
	v_mad_u64_u32 v[20:21], s[2:3], s4, v23, v[20:21]
	v_mul_f64 v[16:17], v[16:17], s[0:1]
	v_mul_f64 v[18:19], v[0:1], s[0:1]
	v_add_u32_e32 v21, s5, v21
	global_store_dwordx4 v[20:21], v[16:19], off
	v_accvgpr_read_b32 v24, a30
	v_accvgpr_read_b32 v26, a32
	;; [unrolled: 1-line block ×6, first 2 shown]
	v_mul_f64 v[0:1], v[18:19], v[6:7]
	v_mul_f64 v[2:3], v[18:19], v[4:5]
	v_fmac_f64_e32 v[0:1], v[16:17], v[4:5]
	v_fma_f64 v[2:3], v[16:17], v[6:7], -v[2:3]
	v_mad_u64_u32 v[16:17], s[2:3], s4, v22, v[20:21]
	v_accvgpr_read_b32 v4, a16
	v_mul_f64 v[0:1], v[0:1], s[0:1]
	v_mul_f64 v[2:3], v[2:3], s[0:1]
	v_add_u32_e32 v17, s6, v17
	v_accvgpr_read_b32 v6, a18
	v_accvgpr_read_b32 v7, a19
	global_store_dwordx4 v[16:17], v[0:3], off
	v_accvgpr_read_b32 v5, a17
	v_mad_u64_u32 v[16:17], s[2:3], s4, v23, v[16:17]
	s_waitcnt lgkmcnt(0)
	v_mul_f64 v[0:1], v[6:7], v[14:15]
	v_mul_f64 v[2:3], v[6:7], v[12:13]
	v_fmac_f64_e32 v[0:1], v[4:5], v[12:13]
	v_fma_f64 v[2:3], v[4:5], v[14:15], -v[2:3]
	ds_read_b128 v[4:7], v145 offset:12320
	v_accvgpr_read_b32 v18, a24
	v_mul_f64 v[0:1], v[0:1], s[0:1]
	v_mul_f64 v[2:3], v[2:3], s[0:1]
	v_add_u32_e32 v17, s5, v17
	v_accvgpr_read_b32 v20, a26
	v_accvgpr_read_b32 v21, a27
	global_store_dwordx4 v[16:17], v[0:3], off
	ds_read_b128 v[0:3], v145 offset:13552
	v_accvgpr_read_b32 v19, a25
	s_waitcnt lgkmcnt(1)
	v_mul_f64 v[12:13], v[20:21], v[6:7]
	v_fmac_f64_e32 v[12:13], v[18:19], v[4:5]
	v_mul_f64 v[4:5], v[20:21], v[4:5]
	v_fma_f64 v[4:5], v[18:19], v[6:7], -v[4:5]
	v_mul_f64 v[14:15], v[4:5], s[0:1]
	ds_read_b128 v[4:7], v145 offset:4928
	v_mad_u64_u32 v[20:21], s[2:3], s4, v22, v[16:17]
	v_mul_f64 v[12:13], v[12:13], s[0:1]
	v_add_u32_e32 v21, s6, v21
	v_accvgpr_read_b32 v27, a33
	global_store_dwordx4 v[20:21], v[12:15], off
	ds_read_b128 v[12:15], v145 offset:6160
	v_accvgpr_read_b32 v25, a31
	s_waitcnt lgkmcnt(1)
	v_mul_f64 v[16:17], v[26:27], v[6:7]
	v_fmac_f64_e32 v[16:17], v[24:25], v[4:5]
	v_mul_f64 v[4:5], v[26:27], v[4:5]
	v_fma_f64 v[4:5], v[24:25], v[6:7], -v[4:5]
	v_mad_u64_u32 v[20:21], s[2:3], s4, v23, v[20:21]
	v_mul_f64 v[16:17], v[16:17], s[0:1]
	v_mul_f64 v[18:19], v[4:5], s[0:1]
	v_add_u32_e32 v21, s5, v21
	global_store_dwordx4 v[20:21], v[16:19], off
	s_nop 1
	v_accvgpr_read_b32 v16, a34
	v_accvgpr_read_b32 v18, a36
	;; [unrolled: 1-line block ×4, first 2 shown]
	v_mul_f64 v[4:5], v[18:19], v[2:3]
	v_fmac_f64_e32 v[4:5], v[16:17], v[0:1]
	v_mul_f64 v[0:1], v[18:19], v[0:1]
	v_fma_f64 v[0:1], v[16:17], v[2:3], -v[0:1]
	v_mad_u64_u32 v[16:17], s[2:3], s4, v22, v[20:21]
	v_mul_f64 v[4:5], v[4:5], s[0:1]
	v_mul_f64 v[6:7], v[0:1], s[0:1]
	v_add_u32_e32 v17, s6, v17
	global_store_dwordx4 v[16:17], v[4:7], off
	v_mad_u64_u32 v[16:17], s[2:3], s4, v23, v[16:17]
	s_nop 0
	v_accvgpr_read_b32 v4, a42
	v_accvgpr_read_b32 v6, a44
	;; [unrolled: 1-line block ×4, first 2 shown]
	s_waitcnt lgkmcnt(0)
	v_mul_f64 v[0:1], v[6:7], v[14:15]
	v_mul_f64 v[2:3], v[6:7], v[12:13]
	v_fmac_f64_e32 v[0:1], v[4:5], v[12:13]
	v_fma_f64 v[2:3], v[4:5], v[14:15], -v[2:3]
	ds_read_b128 v[4:7], v145 offset:14784
	v_accvgpr_read_b32 v18, a38
	v_mul_f64 v[0:1], v[0:1], s[0:1]
	v_mul_f64 v[2:3], v[2:3], s[0:1]
	v_add_u32_e32 v17, s5, v17
	v_accvgpr_read_b32 v20, a40
	v_accvgpr_read_b32 v21, a41
	global_store_dwordx4 v[16:17], v[0:3], off
	ds_read_b128 v[0:3], v145 offset:16016
	v_accvgpr_read_b32 v19, a39
	s_waitcnt lgkmcnt(1)
	v_mul_f64 v[12:13], v[20:21], v[6:7]
	v_fmac_f64_e32 v[12:13], v[18:19], v[4:5]
	v_mul_f64 v[4:5], v[20:21], v[4:5]
	v_fma_f64 v[4:5], v[18:19], v[6:7], -v[4:5]
	v_mad_u64_u32 v[16:17], s[2:3], s4, v22, v[16:17]
	v_mul_f64 v[12:13], v[12:13], s[0:1]
	v_mul_f64 v[14:15], v[4:5], s[0:1]
	v_add_u32_e32 v17, s6, v17
	global_store_dwordx4 v[16:17], v[12:15], off
	s_nop 1
	v_accvgpr_read_b32 v12, a46
	v_accvgpr_read_b32 v14, a48
	;; [unrolled: 1-line block ×4, first 2 shown]
	v_mul_f64 v[4:5], v[14:15], v[10:11]
	v_mul_f64 v[6:7], v[14:15], v[8:9]
	v_fmac_f64_e32 v[4:5], v[12:13], v[8:9]
	v_fma_f64 v[6:7], v[12:13], v[10:11], -v[6:7]
	v_mad_u64_u32 v[8:9], s[2:3], s4, v23, v[16:17]
	v_accvgpr_read_b32 v10, a54
	v_mul_f64 v[4:5], v[4:5], s[0:1]
	v_mul_f64 v[6:7], v[6:7], s[0:1]
	v_add_u32_e32 v9, s5, v9
	v_accvgpr_read_b32 v12, a56
	v_accvgpr_read_b32 v13, a57
	global_store_dwordx4 v[8:9], v[4:7], off
	v_accvgpr_read_b32 v11, a55
	s_waitcnt lgkmcnt(0)
	v_mul_f64 v[4:5], v[12:13], v[2:3]
	v_fmac_f64_e32 v[4:5], v[10:11], v[0:1]
	v_mul_f64 v[0:1], v[12:13], v[0:1]
	v_fma_f64 v[0:1], v[10:11], v[2:3], -v[0:1]
	v_mul_f64 v[4:5], v[4:5], s[0:1]
	v_mul_f64 v[6:7], v[0:1], s[0:1]
	v_mad_u64_u32 v[0:1], s[0:1], s4, v22, v[8:9]
	v_add_u32_e32 v1, s6, v1
	global_store_dwordx4 v[0:1], v[4:7], off
.LBB0_10:
	s_endpgm
	.section	.rodata,"a",@progbits
	.p2align	6, 0x0
	.amdhsa_kernel bluestein_single_fwd_len1078_dim1_dp_op_CI_CI
		.amdhsa_group_segment_fixed_size 51744
		.amdhsa_private_segment_fixed_size 0
		.amdhsa_kernarg_size 104
		.amdhsa_user_sgpr_count 2
		.amdhsa_user_sgpr_dispatch_ptr 0
		.amdhsa_user_sgpr_queue_ptr 0
		.amdhsa_user_sgpr_kernarg_segment_ptr 1
		.amdhsa_user_sgpr_dispatch_id 0
		.amdhsa_user_sgpr_kernarg_preload_length 0
		.amdhsa_user_sgpr_kernarg_preload_offset 0
		.amdhsa_user_sgpr_private_segment_size 0
		.amdhsa_uses_dynamic_stack 0
		.amdhsa_enable_private_segment 0
		.amdhsa_system_sgpr_workgroup_id_x 1
		.amdhsa_system_sgpr_workgroup_id_y 0
		.amdhsa_system_sgpr_workgroup_id_z 0
		.amdhsa_system_sgpr_workgroup_info 0
		.amdhsa_system_vgpr_workitem_id 0
		.amdhsa_next_free_vgpr 362
		.amdhsa_next_free_sgpr 40
		.amdhsa_accum_offset 256
		.amdhsa_reserve_vcc 1
		.amdhsa_float_round_mode_32 0
		.amdhsa_float_round_mode_16_64 0
		.amdhsa_float_denorm_mode_32 3
		.amdhsa_float_denorm_mode_16_64 3
		.amdhsa_dx10_clamp 1
		.amdhsa_ieee_mode 1
		.amdhsa_fp16_overflow 0
		.amdhsa_tg_split 0
		.amdhsa_exception_fp_ieee_invalid_op 0
		.amdhsa_exception_fp_denorm_src 0
		.amdhsa_exception_fp_ieee_div_zero 0
		.amdhsa_exception_fp_ieee_overflow 0
		.amdhsa_exception_fp_ieee_underflow 0
		.amdhsa_exception_fp_ieee_inexact 0
		.amdhsa_exception_int_div_zero 0
	.end_amdhsa_kernel
	.text
.Lfunc_end0:
	.size	bluestein_single_fwd_len1078_dim1_dp_op_CI_CI, .Lfunc_end0-bluestein_single_fwd_len1078_dim1_dp_op_CI_CI
                                        ; -- End function
	.section	.AMDGPU.csdata,"",@progbits
; Kernel info:
; codeLenInByte = 25804
; NumSgprs: 46
; NumVgprs: 256
; NumAgprs: 106
; TotalNumVgprs: 362
; ScratchSize: 0
; MemoryBound: 0
; FloatMode: 240
; IeeeMode: 1
; LDSByteSize: 51744 bytes/workgroup (compile time only)
; SGPRBlocks: 5
; VGPRBlocks: 45
; NumSGPRsForWavesPerEU: 46
; NumVGPRsForWavesPerEU: 362
; AccumOffset: 256
; Occupancy: 1
; WaveLimiterHint : 1
; COMPUTE_PGM_RSRC2:SCRATCH_EN: 0
; COMPUTE_PGM_RSRC2:USER_SGPR: 2
; COMPUTE_PGM_RSRC2:TRAP_HANDLER: 0
; COMPUTE_PGM_RSRC2:TGID_X_EN: 1
; COMPUTE_PGM_RSRC2:TGID_Y_EN: 0
; COMPUTE_PGM_RSRC2:TGID_Z_EN: 0
; COMPUTE_PGM_RSRC2:TIDIG_COMP_CNT: 0
; COMPUTE_PGM_RSRC3_GFX90A:ACCUM_OFFSET: 63
; COMPUTE_PGM_RSRC3_GFX90A:TG_SPLIT: 0
	.text
	.p2alignl 6, 3212836864
	.fill 256, 4, 3212836864
	.type	__hip_cuid_539d08dd484144aa,@object ; @__hip_cuid_539d08dd484144aa
	.section	.bss,"aw",@nobits
	.globl	__hip_cuid_539d08dd484144aa
__hip_cuid_539d08dd484144aa:
	.byte	0                               ; 0x0
	.size	__hip_cuid_539d08dd484144aa, 1

	.ident	"AMD clang version 19.0.0git (https://github.com/RadeonOpenCompute/llvm-project roc-6.4.0 25133 c7fe45cf4b819c5991fe208aaa96edf142730f1d)"
	.section	".note.GNU-stack","",@progbits
	.addrsig
	.addrsig_sym __hip_cuid_539d08dd484144aa
	.amdgpu_metadata
---
amdhsa.kernels:
  - .agpr_count:     106
    .args:
      - .actual_access:  read_only
        .address_space:  global
        .offset:         0
        .size:           8
        .value_kind:     global_buffer
      - .actual_access:  read_only
        .address_space:  global
        .offset:         8
        .size:           8
        .value_kind:     global_buffer
      - .actual_access:  read_only
        .address_space:  global
        .offset:         16
        .size:           8
        .value_kind:     global_buffer
      - .actual_access:  read_only
        .address_space:  global
        .offset:         24
        .size:           8
        .value_kind:     global_buffer
      - .actual_access:  read_only
        .address_space:  global
        .offset:         32
        .size:           8
        .value_kind:     global_buffer
      - .offset:         40
        .size:           8
        .value_kind:     by_value
      - .address_space:  global
        .offset:         48
        .size:           8
        .value_kind:     global_buffer
      - .address_space:  global
        .offset:         56
        .size:           8
        .value_kind:     global_buffer
      - .address_space:  global
        .offset:         64
        .size:           8
        .value_kind:     global_buffer
      - .address_space:  global
        .offset:         72
        .size:           8
        .value_kind:     global_buffer
      - .offset:         80
        .size:           4
        .value_kind:     by_value
      - .address_space:  global
        .offset:         88
        .size:           8
        .value_kind:     global_buffer
      - .address_space:  global
        .offset:         96
        .size:           8
        .value_kind:     global_buffer
    .group_segment_fixed_size: 51744
    .kernarg_segment_align: 8
    .kernarg_segment_size: 104
    .language:       OpenCL C
    .language_version:
      - 2
      - 0
    .max_flat_workgroup_size: 231
    .name:           bluestein_single_fwd_len1078_dim1_dp_op_CI_CI
    .private_segment_fixed_size: 0
    .sgpr_count:     46
    .sgpr_spill_count: 0
    .symbol:         bluestein_single_fwd_len1078_dim1_dp_op_CI_CI.kd
    .uniform_work_group_size: 1
    .uses_dynamic_stack: false
    .vgpr_count:     362
    .vgpr_spill_count: 0
    .wavefront_size: 64
amdhsa.target:   amdgcn-amd-amdhsa--gfx950
amdhsa.version:
  - 1
  - 2
...

	.end_amdgpu_metadata
